;; amdgpu-corpus repo=ROCm/rocFFT kind=compiled arch=gfx906 opt=O3
	.text
	.amdgcn_target "amdgcn-amd-amdhsa--gfx906"
	.amdhsa_code_object_version 6
	.protected	bluestein_single_back_len1078_dim1_sp_op_CI_CI ; -- Begin function bluestein_single_back_len1078_dim1_sp_op_CI_CI
	.globl	bluestein_single_back_len1078_dim1_sp_op_CI_CI
	.p2align	8
	.type	bluestein_single_back_len1078_dim1_sp_op_CI_CI,@function
bluestein_single_back_len1078_dim1_sp_op_CI_CI: ; @bluestein_single_back_len1078_dim1_sp_op_CI_CI
; %bb.0:
	v_mul_u32_u24_e32 v1, 0x354, v0
	s_load_dwordx4 s[16:19], s[4:5], 0x28
	v_lshrrev_b32_e32 v1, 16, v1
	v_mad_u64_u32 v[148:149], s[0:1], s6, 3, v[1:2]
	v_mov_b32_e32 v149, 0
	s_waitcnt lgkmcnt(0)
	v_cmp_gt_u64_e32 vcc, s[16:17], v[148:149]
	s_and_saveexec_b64 s[0:1], vcc
	s_cbranch_execz .LBB0_10
; %bb.1:
	s_load_dwordx4 s[0:3], s[4:5], 0x18
	s_load_dwordx4 s[8:11], s[4:5], 0x0
	v_mul_lo_u16_e32 v1, 0x4d, v1
	v_sub_u16_e32 v163, v0, v1
	v_lshlrev_b32_e32 v32, 3, v163
	s_waitcnt lgkmcnt(0)
	s_load_dwordx4 s[12:15], s[0:1], 0x0
	s_movk_i32 s6, 0x1000
	global_load_dwordx2 v[155:156], v32, s[8:9]
                                        ; implicit-def: $vgpr66
                                        ; implicit-def: $vgpr70
                                        ; implicit-def: $vgpr84
                                        ; implicit-def: $vgpr76
                                        ; implicit-def: $vgpr80
	s_waitcnt lgkmcnt(0)
	v_mad_u64_u32 v[0:1], s[0:1], s14, v148, 0
	v_mad_u64_u32 v[2:3], s[0:1], s12, v163, 0
	s_mul_hi_u32 s7, s12, 0xfffff190
	s_sub_i32 s7, s7, s12
	v_mad_u64_u32 v[4:5], s[0:1], s15, v148, v[1:2]
	v_mad_u64_u32 v[5:6], s[0:1], s13, v163, v[3:4]
	v_mov_b32_e32 v1, v4
	v_lshlrev_b64 v[0:1], 3, v[0:1]
	v_mov_b32_e32 v6, s19
	v_mov_b32_e32 v3, v5
	v_add_co_u32_e32 v4, vcc, s18, v0
	v_addc_co_u32_e32 v5, vcc, v6, v1, vcc
	v_lshlrev_b64 v[0:1], 3, v[2:3]
	v_mov_b32_e32 v2, s9
	v_add_co_u32_e32 v0, vcc, v4, v0
	v_addc_co_u32_e32 v1, vcc, v5, v1, vcc
	v_add_co_u32_e32 v8, vcc, s8, v32
	s_mul_i32 s0, s13, 0x10d8
	s_mul_hi_u32 s1, s12, 0x10d8
	v_addc_co_u32_e32 v9, vcc, 0, v2, vcc
	s_add_i32 s0, s1, s0
	s_mul_i32 s1, s12, 0x10d8
	v_mov_b32_e32 v3, s0
	v_add_co_u32_e32 v2, vcc, s1, v0
	v_addc_co_u32_e32 v3, vcc, v1, v3, vcc
	global_load_dwordx2 v[4:5], v[0:1], off
	global_load_dwordx2 v[6:7], v[2:3], off
	v_add_co_u32_e32 v0, vcc, s6, v8
	s_mul_i32 s6, s13, 0xfffff190
	v_addc_co_u32_e32 v1, vcc, 0, v9, vcc
	s_add_i32 s6, s7, s6
	s_mul_i32 s7, s12, 0xfffff190
	v_mov_b32_e32 v8, s6
	v_add_co_u32_e32 v2, vcc, s7, v2
	v_addc_co_u32_e32 v3, vcc, v3, v8, vcc
	v_mov_b32_e32 v9, s0
	v_add_co_u32_e32 v8, vcc, s1, v2
	v_addc_co_u32_e32 v9, vcc, v3, v9, vcc
	;; [unrolled: 3-line block ×3, first 2 shown]
	global_load_dwordx2 v[157:158], v[0:1], off offset:216
	global_load_dwordx2 v[149:150], v[0:1], off offset:832
	global_load_dwordx2 v[12:13], v[2:3], off
	global_load_dwordx2 v[14:15], v[8:9], off
	;; [unrolled: 1-line block ×3, first 2 shown]
	v_mov_b32_e32 v3, s0
	v_add_co_u32_e32 v2, vcc, s1, v10
	v_addc_co_u32_e32 v3, vcc, v11, v3, vcc
	global_load_dwordx2 v[8:9], v[2:3], off
	v_mov_b32_e32 v10, s6
	v_add_co_u32_e32 v2, vcc, s7, v2
	v_addc_co_u32_e32 v3, vcc, v3, v10, vcc
	global_load_dwordx2 v[159:160], v32, s[8:9] offset:616
	global_load_dwordx2 v[10:11], v[2:3], off
	global_load_dwordx2 v[153:154], v32, s[8:9] offset:1232
	global_load_dwordx2 v[146:147], v32, s[8:9] offset:1848
	v_mov_b32_e32 v18, s0
	v_add_co_u32_e32 v2, vcc, s1, v2
	v_addc_co_u32_e32 v3, vcc, v3, v18, vcc
	global_load_dwordx2 v[18:19], v[2:3], off
	global_load_dwordx2 v[151:152], v[0:1], off offset:1448
	global_load_dwordx2 v[144:145], v[0:1], off offset:2064
	v_mov_b32_e32 v20, s6
	v_add_co_u32_e32 v2, vcc, s7, v2
	v_addc_co_u32_e32 v3, vcc, v3, v20, vcc
	global_load_dwordx2 v[20:21], v[2:3], off
	global_load_dwordx2 v[142:143], v32, s[8:9] offset:2464
	v_mov_b32_e32 v22, s0
	v_add_co_u32_e32 v2, vcc, s1, v2
	v_addc_co_u32_e32 v3, vcc, v3, v22, vcc
	global_load_dwordx2 v[22:23], v[2:3], off
	global_load_dwordx2 v[140:141], v[0:1], off offset:2680
	v_mov_b32_e32 v24, s6
	v_add_co_u32_e32 v2, vcc, s7, v2
	v_addc_co_u32_e32 v3, vcc, v3, v24, vcc
	global_load_dwordx2 v[24:25], v[2:3], off
	global_load_dwordx2 v[138:139], v32, s[8:9] offset:3080
	v_mov_b32_e32 v26, s0
	v_add_co_u32_e32 v2, vcc, s1, v2
	v_addc_co_u32_e32 v3, vcc, v3, v26, vcc
	global_load_dwordx2 v[26:27], v[2:3], off
	;; [unrolled: 10-line block ×3, first 2 shown]
	global_load_dwordx2 v[132:133], v[0:1], off offset:3912
	s_mov_b32 s0, 0xaaaaaaab
	v_mul_hi_u32 v0, v148, s0
	s_load_dwordx2 s[12:13], s[4:5], 0x38
	s_movk_i32 s0, 0x4d
	s_load_dwordx4 s[4:7], s[2:3], 0x0
	v_lshrrev_b32_e32 v0, 1, v0
	v_lshl_add_u32 v0, v0, 1, v0
	v_sub_u32_e32 v0, v148, v0
	v_mul_u32_u24_e32 v1, 0x436, v0
	v_lshlrev_b32_e32 v165, 3, v1
	v_add_u32_e32 v164, v32, v165
	s_waitcnt vmcnt(26)
	v_mul_f32_e32 v0, v5, v156
	v_mul_f32_e32 v1, v4, v156
	v_fmac_f32_e32 v0, v4, v155
	v_fma_f32 v1, v5, v155, -v1
	v_add_co_u32_e32 v86, vcc, s0, v163
	v_lshl_add_u32 v93, v86, 4, v165
	v_lshl_add_u32 v87, v163, 4, v165
	v_cmp_gt_u16_e32 vcc, 21, v163
	s_waitcnt vmcnt(24)
	v_mul_f32_e32 v2, v7, v158
	v_mul_f32_e32 v3, v6, v158
	v_fmac_f32_e32 v2, v6, v157
	v_fma_f32 v3, v7, v157, -v3
	ds_write_b64 v164, v[2:3] offset:4312
	s_waitcnt vmcnt(18)
	v_mul_f32_e32 v2, v13, v160
	v_mul_f32_e32 v3, v12, v160
	v_fmac_f32_e32 v2, v12, v159
	v_fma_f32 v3, v13, v159, -v3
	ds_write2_b64 v164, v[0:1], v[2:3] offset1:77
	v_mul_f32_e32 v0, v14, v150
	v_fma_f32 v2, v15, v149, -v0
	s_waitcnt vmcnt(16)
	v_mul_f32_e32 v0, v16, v154
	v_mul_f32_e32 v1, v15, v150
	v_fma_f32 v4, v17, v153, -v0
	s_waitcnt vmcnt(13)
	v_mul_f32_e32 v5, v9, v152
	v_mul_f32_e32 v0, v8, v152
	v_fmac_f32_e32 v1, v14, v149
	v_fmac_f32_e32 v5, v8, v151
	v_fma_f32 v6, v9, v151, -v0
	v_add_u32_e32 v0, 0x1000, v164
	v_mul_f32_e32 v3, v17, v154
	ds_write2_b64 v0, v[1:2], v[5:6] offset0:104 offset1:181
	v_mul_f32_e32 v1, v11, v147
	v_mul_f32_e32 v2, v10, v147
	v_fmac_f32_e32 v3, v16, v153
	v_fmac_f32_e32 v1, v10, v146
	v_fma_f32 v2, v11, v146, -v2
	ds_write2_b64 v164, v[3:4], v[1:2] offset0:154 offset1:231
	s_waitcnt vmcnt(12)
	v_mul_f32_e32 v1, v18, v145
	v_fma_f32 v3, v19, v144, -v1
	s_waitcnt vmcnt(10)
	v_mul_f32_e32 v1, v20, v143
	v_mul_f32_e32 v2, v19, v145
	v_fma_f32 v5, v21, v142, -v1
	s_waitcnt vmcnt(8)
	v_mul_f32_e32 v6, v23, v141
	v_mul_f32_e32 v1, v22, v141
	v_fmac_f32_e32 v2, v18, v144
	v_fmac_f32_e32 v6, v22, v140
	v_fma_f32 v7, v23, v140, -v1
	v_add_u32_e32 v1, 0x1800, v164
	v_mul_f32_e32 v4, v21, v143
	ds_write2_b64 v1, v[2:3], v[6:7] offset0:2 offset1:79
	s_waitcnt vmcnt(6)
	v_mul_f32_e32 v6, v25, v139
	v_mul_f32_e32 v2, v24, v139
	v_fmac_f32_e32 v4, v20, v142
	v_fmac_f32_e32 v6, v24, v138
	v_fma_f32 v7, v25, v138, -v2
	v_add_u32_e32 v2, 0x800, v164
	ds_write2_b64 v2, v[4:5], v[6:7] offset0:52 offset1:129
	s_waitcnt vmcnt(2)
	v_mul_f32_e32 v5, v29, v135
	v_mul_f32_e32 v6, v28, v135
	v_fmac_f32_e32 v5, v28, v134
	v_fma_f32 v6, v29, v134, -v6
	v_mul_f32_e32 v3, v27, v137
	v_mul_f32_e32 v4, v26, v137
	ds_write_b64 v164, v[5:6] offset:3696
	s_waitcnt vmcnt(0)
	v_mul_f32_e32 v5, v31, v133
	v_mul_f32_e32 v6, v30, v133
	v_fmac_f32_e32 v3, v26, v136
	v_fma_f32 v4, v27, v136, -v4
	v_fmac_f32_e32 v5, v30, v132
	v_fma_f32 v6, v31, v132, -v6
	ds_write2_b64 v1, v[3:4], v[5:6] offset0:156 offset1:233
	v_add_u32_e32 v3, 0xc00, v164
	s_waitcnt lgkmcnt(0)
	s_barrier
	ds_read2_b64 v[4:7], v164 offset1:77
	ds_read2_b64 v[8:11], v3 offset0:78 offset1:155
	ds_read2_b64 v[12:15], v0 offset0:104 offset1:181
	;; [unrolled: 1-line block ×6, first 2 shown]
	s_waitcnt lgkmcnt(0)
	s_barrier
	v_sub_f32_e32 v12, v6, v12
	v_sub_f32_e32 v13, v7, v13
	;; [unrolled: 1-line block ×5, first 2 shown]
	v_fma_f32 v10, v6, 2.0, -v12
	v_fma_f32 v11, v7, 2.0, -v13
	v_sub_f32_e32 v6, v16, v14
	v_sub_f32_e32 v7, v17, v15
	v_fma_f32 v46, v8, 2.0, -v48
	v_lshlrev_b16_e32 v8, 1, v163
	v_fma_f32 v32, v4, 2.0, -v34
	v_fma_f32 v33, v5, 2.0, -v35
	;; [unrolled: 1-line block ×4, first 2 shown]
	v_sub_f32_e32 v16, v18, v20
	v_sub_f32_e32 v17, v19, v21
	;; [unrolled: 1-line block ×7, first 2 shown]
	v_lshl_add_u32 v92, v8, 3, v165
	v_fma_f32 v14, v18, 2.0, -v16
	v_fma_f32 v15, v19, 2.0, -v17
	;; [unrolled: 1-line block ×7, first 2 shown]
	ds_write_b128 v92, v[32:35]
	ds_write_b128 v93, v[10:13]
	ds_write_b128 v87, v[4:7] offset:2464
	ds_write_b128 v87, v[14:17] offset:3696
	;; [unrolled: 1-line block ×5, first 2 shown]
	v_add_u32_e32 v4, 0x400, v164
	s_waitcnt lgkmcnt(0)
	s_barrier
	ds_read2_b64 v[42:45], v164 offset1:98
	ds_read2_b64 v[62:65], v4 offset0:68 offset1:166
	ds_read2_b64 v[58:61], v2 offset0:136 offset1:234
	;; [unrolled: 1-line block ×4, first 2 shown]
	ds_read_b64 v[82:83], v164 offset:7840
	s_and_saveexec_b64 s[0:1], vcc
	s_cbranch_execz .LBB0_3
; %bb.2:
	ds_read2_b64 v[4:7], v164 offset0:77 offset1:175
	ds_read2_b64 v[78:81], v2 offset0:17 offset1:115
	;; [unrolled: 1-line block ×5, first 2 shown]
	ds_read_b64 v[84:85], v164 offset:8456
	s_waitcnt lgkmcnt(4)
	v_mov_b32_e32 v48, v78
	v_mov_b32_e32 v49, v79
	v_mov_b32_e32 v46, v6
	v_mov_b32_e32 v47, v7
	v_mov_b32_e32 v40, v4
	v_mov_b32_e32 v41, v5
.LBB0_3:
	s_or_b64 exec, exec, s[0:1]
	v_and_b32_e32 v88, 1, v163
	v_mul_u32_u24_e32 v0, 10, v88
	v_lshlrev_b32_e32 v0, 3, v0
	v_and_b32_e32 v166, 1, v86
	global_load_dwordx4 v[32:35], v0, s[10:11]
	global_load_dwordx4 v[28:31], v0, s[10:11] offset:16
	global_load_dwordx4 v[24:27], v0, s[10:11] offset:32
	;; [unrolled: 1-line block ×4, first 2 shown]
	v_mul_u32_u24_e32 v0, 10, v166
	v_lshlrev_b32_e32 v78, 3, v0
	global_load_dwordx4 v[12:15], v78, s[10:11]
	global_load_dwordx4 v[8:11], v78, s[10:11] offset:16
	global_load_dwordx4 v[0:3], v78, s[10:11] offset:32
	;; [unrolled: 1-line block ×4, first 2 shown]
	s_mov_b32 s0, 0x3f575c64
	s_mov_b32 s1, 0x3ed4b147
	;; [unrolled: 1-line block ×5, first 2 shown]
	s_waitcnt vmcnt(0) lgkmcnt(0)
	s_barrier
	v_lshrrev_b32_e32 v167, 1, v86
	v_mul_f32_e32 v89, v45, v33
	v_mul_f32_e32 v96, v64, v29
	;; [unrolled: 1-line block ×7, first 2 shown]
	v_fmac_f32_e32 v96, v65, v28
	v_fma_f32 v65, v44, v32, -v89
	v_mul_f32_e32 v44, v73, v17
	v_mul_f32_e32 v91, v63, v35
	;; [unrolled: 1-line block ×5, first 2 shown]
	v_fmac_f32_e32 v98, v59, v30
	v_fma_f32 v59, v60, v24, -v99
	v_fma_f32 v60, v54, v26, -v101
	v_fma_f32 v54, v72, v16, -v44
	v_mul_f32_e32 v44, v85, v19
	v_mul_f32_e32 v94, v62, v35
	v_fma_f32 v62, v62, v34, -v91
	v_fmac_f32_e32 v102, v55, v26
	v_fma_f32 v55, v84, v18, -v44
	v_add_f32_e32 v44, v42, v65
	v_fmac_f32_e32 v94, v63, v34
	v_fma_f32 v63, v64, v28, -v95
	v_add_f32_e32 v44, v44, v62
	v_fma_f32 v64, v58, v30, -v97
	v_add_f32_e32 v44, v44, v63
	v_add_f32_e32 v44, v44, v64
	v_mul_f32_e32 v103, v57, v21
	v_add_f32_e32 v44, v44, v59
	v_mul_f32_e32 v110, v51, v23
	v_mul_f32_e32 v114, v83, v39
	v_fmac_f32_e32 v100, v61, v24
	v_fma_f32 v61, v56, v20, -v103
	v_add_f32_e32 v44, v44, v60
	v_mul_f32_e32 v111, v50, v23
	v_mul_f32_e32 v112, v53, v37
	;; [unrolled: 1-line block ×4, first 2 shown]
	v_fma_f32 v89, v50, v22, -v110
	v_fma_f32 v82, v82, v38, -v114
	v_add_f32_e32 v44, v44, v61
	v_mul_f32_e32 v109, v56, v21
	v_mul_f32_e32 v104, v80, v9
	;; [unrolled: 1-line block ×5, first 2 shown]
	v_fmac_f32_e32 v90, v45, v32
	v_fmac_f32_e32 v111, v51, v22
	v_fma_f32 v91, v52, v36, -v112
	v_fmac_f32_e32 v115, v83, v38
	v_fma_f32 v51, v66, v2, -v121
	v_mul_f32_e32 v56, v70, v7
	v_mul_f32_e32 v58, v84, v19
	v_add_f32_e32 v44, v44, v89
	v_add_f32_e32 v66, v65, v82
	v_sub_f32_e32 v65, v65, v82
	v_mul_f32_e32 v113, v52, v37
	v_mul_f32_e32 v118, v81, v9
	;; [unrolled: 1-line block ×7, first 2 shown]
	v_fmac_f32_e32 v109, v57, v20
	v_fmac_f32_e32 v104, v81, v8
	;; [unrolled: 1-line block ×3, first 2 shown]
	v_fma_f32 v52, v68, v4, -v122
	v_fmac_f32_e32 v56, v71, v6
	v_mul_f32_e32 v57, v72, v17
	v_fmac_f32_e32 v58, v85, v18
	v_add_f32_e32 v44, v44, v91
	v_sub_f32_e32 v68, v90, v115
	v_mul_f32_e32 v71, 0xbf0a6770, v65
	v_mul_f32_e32 v75, 0xbf68dda4, v65
	;; [unrolled: 1-line block ×8, first 2 shown]
	v_fmac_f32_e32 v113, v53, v36
	v_fma_f32 v50, v76, v0, -v120
	v_fmac_f32_e32 v106, v77, v0
	v_fmac_f32_e32 v107, v67, v2
	;; [unrolled: 1-line block ×4, first 2 shown]
	v_add_f32_e32 v45, v43, v90
	v_add_f32_e32 v44, v44, v82
	;; [unrolled: 1-line block ×3, first 2 shown]
	v_mul_f32_e32 v69, 0xbf0a6770, v68
	v_mov_b32_e32 v72, v71
	v_mul_f32_e32 v73, 0xbf68dda4, v68
	v_mov_b32_e32 v76, v75
	;; [unrolled: 2-line block ×5, first 2 shown]
	v_mul_f32_e32 v116, v47, v13
	v_fmac_f32_e32 v78, v47, v12
	v_fma_f32 v47, v48, v14, -v117
	v_fmac_f32_e32 v79, v49, v14
	v_fma_f32 v48, v80, v8, -v118
	v_fma_f32 v49, v74, v10, -v119
	;; [unrolled: 1-line block ×4, first 2 shown]
	v_fmac_f32_e32 v72, 0x3f575c64, v67
	v_fmac_f32_e32 v69, 0x3f575c64, v66
	v_fma_f32 v71, v67, s0, -v71
	v_fma_f32 v74, v66, s1, -v73
	v_fmac_f32_e32 v76, 0x3ed4b147, v67
	v_fmac_f32_e32 v73, 0x3ed4b147, v66
	v_fma_f32 v75, v67, s1, -v75
	v_fma_f32 v80, v66, s2, -v77
	;; [unrolled: 4-line block ×4, first 2 shown]
	v_fmac_f32_e32 v97, 0xbf75a155, v67
	v_fmac_f32_e32 v68, 0xbf75a155, v66
	v_fma_f32 v65, v67, s14, -v65
	v_sub_f32_e32 v67, v94, v113
	v_add_f32_e32 v70, v42, v70
	v_add_f32_e32 v72, v43, v72
	;; [unrolled: 1-line block ×21, first 2 shown]
	v_mul_f32_e32 v68, 0xbf68dda4, v67
	v_sub_f32_e32 v62, v62, v91
	v_fma_f32 v91, v65, s1, -v68
	v_add_f32_e32 v66, v94, v113
	v_add_f32_e32 v70, v91, v70
	v_mul_f32_e32 v91, 0xbf68dda4, v62
	v_fmac_f32_e32 v68, 0x3ed4b147, v65
	v_add_f32_e32 v68, v68, v69
	v_fma_f32 v69, v66, s1, -v91
	v_add_f32_e32 v69, v69, v71
	v_mul_f32_e32 v71, 0xbf4178ce, v67
	v_add_f32_e32 v45, v45, v94
	v_mov_b32_e32 v94, v91
	v_fma_f32 v91, v65, s3, -v71
	v_add_f32_e32 v74, v91, v74
	v_mul_f32_e32 v91, 0xbf4178ce, v62
	v_fmac_f32_e32 v71, 0xbf27a4f4, v65
	v_add_f32_e32 v71, v71, v73
	v_fma_f32 v73, v66, s3, -v91
	v_fmac_f32_e32 v94, 0x3ed4b147, v66
	v_add_f32_e32 v73, v73, v75
	v_mul_f32_e32 v75, 0x3e903f40, v67
	v_add_f32_e32 v72, v94, v72
	v_mov_b32_e32 v94, v91
	v_fma_f32 v91, v65, s14, -v75
	v_add_f32_e32 v80, v91, v80
	v_mul_f32_e32 v91, 0x3e903f40, v62
	v_fmac_f32_e32 v75, 0xbf75a155, v65
	v_add_f32_e32 v75, v75, v77
	v_fma_f32 v77, v66, s14, -v91
	v_fmac_f32_e32 v94, 0xbf27a4f4, v66
	v_add_f32_e32 v77, v77, v81
	v_mul_f32_e32 v81, 0x3f7d64f0, v67
	v_add_f32_e32 v76, v94, v76
	v_mov_b32_e32 v94, v91
	v_fma_f32 v91, v65, s2, -v81
	v_fmac_f32_e32 v94, 0xbf75a155, v66
	v_add_f32_e32 v84, v91, v84
	v_mul_f32_e32 v91, 0x3f7d64f0, v62
	v_fmac_f32_e32 v81, 0xbe11bafb, v65
	v_mul_f32_e32 v62, 0x3f0a6770, v62
	v_add_f32_e32 v82, v94, v82
	v_mov_b32_e32 v94, v91
	v_add_f32_e32 v81, v81, v83
	v_fma_f32 v83, v66, s2, -v91
	v_mul_f32_e32 v67, 0x3f0a6770, v67
	v_mov_b32_e32 v91, v62
	v_fmac_f32_e32 v94, 0xbe11bafb, v66
	v_add_f32_e32 v83, v83, v85
	v_fma_f32 v85, v65, s0, -v67
	v_fmac_f32_e32 v91, 0x3f575c64, v66
	v_fmac_f32_e32 v67, 0x3f575c64, v65
	v_fma_f32 v62, v66, s0, -v62
	v_sub_f32_e32 v66, v96, v111
	v_add_f32_e32 v42, v67, v42
	v_add_f32_e32 v43, v62, v43
	;; [unrolled: 1-line block ×3, first 2 shown]
	v_mul_f32_e32 v67, 0xbf7d64f0, v66
	v_sub_f32_e32 v63, v63, v89
	v_fma_f32 v89, v62, s2, -v67
	v_add_f32_e32 v65, v96, v111
	v_add_f32_e32 v70, v89, v70
	v_mul_f32_e32 v89, 0xbf7d64f0, v63
	v_fmac_f32_e32 v67, 0xbe11bafb, v62
	v_add_f32_e32 v67, v67, v68
	v_fma_f32 v68, v65, s2, -v89
	v_add_f32_e32 v68, v68, v69
	v_mul_f32_e32 v69, 0x3e903f40, v66
	v_add_f32_e32 v90, v94, v90
	v_mov_b32_e32 v94, v89
	v_fma_f32 v89, v62, s14, -v69
	v_add_f32_e32 v74, v89, v74
	v_mul_f32_e32 v89, 0x3e903f40, v63
	v_fmac_f32_e32 v69, 0xbf75a155, v62
	v_add_f32_e32 v69, v69, v71
	v_fma_f32 v71, v65, s14, -v89
	v_fmac_f32_e32 v94, 0xbe11bafb, v65
	v_add_f32_e32 v71, v71, v73
	v_mul_f32_e32 v73, 0x3f68dda4, v66
	v_add_f32_e32 v72, v94, v72
	v_mov_b32_e32 v94, v89
	v_fma_f32 v89, v62, s1, -v73
	v_add_f32_e32 v80, v89, v80
	v_mul_f32_e32 v89, 0x3f68dda4, v63
	v_fmac_f32_e32 v73, 0x3ed4b147, v62
	v_add_f32_e32 v73, v73, v75
	v_fma_f32 v75, v65, s1, -v89
	v_fmac_f32_e32 v94, 0xbf75a155, v65
	v_add_f32_e32 v75, v75, v77
	v_mul_f32_e32 v77, 0xbf0a6770, v66
	v_add_f32_e32 v76, v94, v76
	v_mov_b32_e32 v94, v89
	v_fma_f32 v89, v62, s0, -v77
	v_add_f32_e32 v84, v89, v84
	v_mul_f32_e32 v89, 0xbf0a6770, v63
	v_fmac_f32_e32 v77, 0x3f575c64, v62
	v_add_f32_e32 v77, v77, v81
	v_fma_f32 v81, v65, s0, -v89
	v_mul_f32_e32 v66, 0xbf4178ce, v66
	v_mul_f32_e32 v63, 0xbf4178ce, v63
	v_add_f32_e32 v85, v85, v95
	v_fmac_f32_e32 v94, 0x3ed4b147, v65
	v_add_f32_e32 v81, v81, v83
	v_fma_f32 v83, v62, s3, -v66
	v_fmac_f32_e32 v66, 0xbf27a4f4, v62
	v_fma_f32 v62, v65, s3, -v63
	v_add_f32_e32 v82, v94, v82
	v_mov_b32_e32 v94, v89
	v_add_f32_e32 v83, v83, v85
	v_mov_b32_e32 v85, v63
	v_add_f32_e32 v43, v62, v43
	v_add_f32_e32 v62, v64, v61
	v_sub_f32_e32 v61, v64, v61
	v_sub_f32_e32 v64, v98, v109
	v_fmac_f32_e32 v94, 0x3f575c64, v65
	v_fmac_f32_e32 v85, 0xbf27a4f4, v65
	v_mul_f32_e32 v65, 0xbf4178ce, v64
	v_add_f32_e32 v42, v66, v42
	v_fma_f32 v66, v62, s3, -v65
	v_add_f32_e32 v63, v98, v109
	v_add_f32_e32 v66, v66, v70
	v_mul_f32_e32 v70, 0xbf4178ce, v61
	v_fmac_f32_e32 v65, 0xbf27a4f4, v62
	v_add_f32_e32 v65, v65, v67
	v_fma_f32 v67, v63, s3, -v70
	v_add_f32_e32 v67, v67, v68
	v_mul_f32_e32 v68, 0x3f7d64f0, v64
	v_mov_b32_e32 v89, v70
	v_fma_f32 v70, v62, s2, -v68
	v_add_f32_e32 v70, v70, v74
	v_mul_f32_e32 v74, 0x3f7d64f0, v61
	v_fmac_f32_e32 v68, 0xbe11bafb, v62
	v_add_f32_e32 v68, v68, v69
	v_fma_f32 v69, v63, s2, -v74
	v_fmac_f32_e32 v89, 0xbf27a4f4, v63
	v_add_f32_e32 v69, v69, v71
	v_mul_f32_e32 v71, 0xbf0a6770, v64
	v_add_f32_e32 v91, v91, v97
	v_add_f32_e32 v72, v89, v72
	v_mov_b32_e32 v89, v74
	v_fma_f32 v74, v62, s0, -v71
	v_add_f32_e32 v85, v85, v91
	v_add_f32_e32 v91, v74, v80
	v_mul_f32_e32 v74, 0xbf0a6770, v61
	v_fmac_f32_e32 v71, 0x3f575c64, v62
	v_mov_b32_e32 v80, v74
	v_add_f32_e32 v71, v71, v73
	v_fma_f32 v73, v63, s0, -v74
	v_mul_f32_e32 v74, 0xbe903f40, v64
	v_add_f32_e32 v73, v73, v75
	v_fma_f32 v75, v62, s14, -v74
	v_add_f32_e32 v84, v75, v84
	v_mul_f32_e32 v75, 0xbe903f40, v61
	v_fmac_f32_e32 v74, 0xbf75a155, v62
	v_add_f32_e32 v77, v74, v77
	v_fma_f32 v74, v63, s14, -v75
	v_mul_f32_e32 v64, 0x3f68dda4, v64
	v_add_f32_e32 v45, v45, v96
	v_fmac_f32_e32 v80, 0x3f575c64, v63
	v_add_f32_e32 v97, v74, v81
	v_fma_f32 v74, v62, s1, -v64
	v_mul_f32_e32 v61, 0x3f68dda4, v61
	v_add_f32_e32 v45, v45, v98
	v_add_f32_e32 v90, v94, v90
	;; [unrolled: 1-line block ×3, first 2 shown]
	v_mov_b32_e32 v80, v75
	v_add_f32_e32 v98, v74, v83
	v_mov_b32_e32 v74, v61
	v_fmac_f32_e32 v64, 0x3ed4b147, v62
	v_fmac_f32_e32 v89, 0xbe11bafb, v63
	;; [unrolled: 1-line block ×4, first 2 shown]
	v_add_f32_e32 v62, v64, v42
	v_fma_f32 v42, v63, s1, -v61
	v_add_f32_e32 v63, v59, v60
	v_sub_f32_e32 v59, v59, v60
	v_sub_f32_e32 v60, v100, v102
	v_add_f32_e32 v61, v42, v43
	v_mul_f32_e32 v42, 0xbe903f40, v60
	v_fma_f32 v43, v63, s14, -v42
	v_add_f32_e32 v99, v74, v85
	v_add_f32_e32 v74, v43, v66
	v_mul_f32_e32 v43, 0xbe903f40, v59
	v_add_f32_e32 v64, v100, v102
	v_mov_b32_e32 v66, v43
	v_fmac_f32_e32 v42, 0xbf75a155, v63
	v_fmac_f32_e32 v66, 0xbf75a155, v64
	v_add_f32_e32 v42, v42, v65
	v_mul_f32_e32 v65, 0x3f0a6770, v60
	v_add_f32_e32 v75, v66, v72
	v_fma_f32 v66, v63, s0, -v65
	v_add_f32_e32 v96, v80, v90
	v_add_f32_e32 v80, v66, v70
	v_mul_f32_e32 v66, 0x3f0a6770, v59
	v_fmac_f32_e32 v65, 0x3f575c64, v63
	v_add_f32_e32 v76, v89, v76
	v_add_f32_e32 v89, v65, v68
	v_fma_f32 v65, v64, s0, -v66
	v_fma_f32 v43, v64, s14, -v43
	v_add_f32_e32 v90, v65, v69
	v_mul_f32_e32 v65, 0xbf4178ce, v60
	v_add_f32_e32 v43, v43, v67
	v_mov_b32_e32 v67, v66
	v_fma_f32 v66, v63, s3, -v65
	v_fmac_f32_e32 v67, 0x3f575c64, v64
	v_add_f32_e32 v82, v66, v91
	v_mul_f32_e32 v66, 0xbf4178ce, v59
	v_add_f32_e32 v81, v67, v76
	v_mov_b32_e32 v67, v66
	v_fmac_f32_e32 v67, 0xbf27a4f4, v64
	v_fmac_f32_e32 v65, 0xbf27a4f4, v63
	v_add_f32_e32 v83, v67, v94
	v_add_f32_e32 v94, v65, v71
	v_fma_f32 v65, v64, s3, -v66
	v_add_f32_e32 v95, v65, v73
	v_mul_f32_e32 v65, 0x3f68dda4, v60
	v_fma_f32 v66, v63, s1, -v65
	v_add_f32_e32 v84, v66, v84
	v_mul_f32_e32 v66, 0x3f68dda4, v59
	v_add_f32_e32 v45, v45, v100
	v_mov_b32_e32 v67, v66
	v_add_f32_e32 v45, v45, v102
	v_fmac_f32_e32 v67, 0x3ed4b147, v64
	v_fmac_f32_e32 v65, 0x3ed4b147, v63
	v_add_f32_e32 v45, v45, v109
	v_add_f32_e32 v85, v67, v96
	;; [unrolled: 1-line block ×3, first 2 shown]
	v_fma_f32 v65, v64, s1, -v66
	v_mul_f32_e32 v60, 0xbf7d64f0, v60
	v_add_f32_e32 v45, v45, v111
	v_add_f32_e32 v97, v65, v97
	v_fma_f32 v65, v63, s2, -v60
	v_mul_f32_e32 v59, 0xbf7d64f0, v59
	v_add_f32_e32 v45, v45, v113
	v_add_f32_e32 v98, v65, v98
	v_mov_b32_e32 v65, v59
	v_fma_f32 v59, v64, s2, -v59
	v_sub_f32_e32 v113, v78, v58
	v_fma_f32 v46, v46, v12, -v116
	v_add_f32_e32 v101, v59, v61
	v_mul_f32_e32 v59, 0xbf0a6770, v113
	v_fmac_f32_e32 v60, 0xbe11bafb, v63
	v_add_f32_e32 v63, v46, v55
	v_sub_f32_e32 v112, v46, v55
	v_mov_b32_e32 v61, v59
	v_fmac_f32_e32 v65, 0xbe11bafb, v64
	v_add_f32_e32 v100, v60, v62
	v_add_f32_e32 v64, v78, v58
	v_mul_f32_e32 v60, 0xbf0a6770, v112
	v_fmac_f32_e32 v61, 0x3f575c64, v63
	v_add_f32_e32 v67, v40, v61
	v_fma_f32 v61, v64, s0, -v60
	v_add_f32_e32 v68, v41, v61
	v_mul_f32_e32 v61, 0xbf68dda4, v113
	v_add_f32_e32 v99, v65, v99
	v_mov_b32_e32 v65, v61
	v_mul_f32_e32 v62, 0xbf68dda4, v112
	v_fmac_f32_e32 v65, 0x3ed4b147, v63
	v_add_f32_e32 v45, v45, v115
	v_add_f32_e32 v71, v40, v65
	v_fma_f32 v65, v64, s1, -v62
	v_sub_f32_e32 v115, v79, v57
	v_add_f32_e32 v72, v41, v65
	v_mul_f32_e32 v65, 0xbf68dda4, v115
	v_add_f32_e32 v69, v47, v54
	v_sub_f32_e32 v114, v47, v54
	v_mov_b32_e32 v73, v65
	v_add_f32_e32 v70, v79, v57
	v_mul_f32_e32 v66, 0xbf68dda4, v114
	v_fmac_f32_e32 v73, 0x3ed4b147, v69
	v_add_f32_e32 v76, v73, v67
	v_fma_f32 v67, v70, s1, -v66
	v_add_f32_e32 v77, v67, v68
	v_mul_f32_e32 v67, 0xbf4178ce, v115
	v_mov_b32_e32 v73, v67
	v_fmac_f32_e32 v73, 0xbf27a4f4, v69
	v_add_f32_e32 v91, v73, v71
	v_lshrrev_b32_e32 v73, 1, v163
	v_mul_u32_u24_e32 v73, 22, v73
	v_mul_f32_e32 v68, 0xbf4178ce, v114
	v_sub_f32_e32 v117, v104, v56
	v_or_b32_e32 v88, v73, v88
	v_fma_f32 v71, v70, s3, -v68
	v_mul_f32_e32 v73, 0xbf7d64f0, v117
	v_lshl_add_u32 v168, v88, 3, v165
	v_add_f32_e32 v102, v71, v72
	v_add_f32_e32 v71, v48, v53
	v_sub_f32_e32 v116, v48, v53
	ds_write2_b64 v168, v[44:45], v[74:75] offset1:2
	v_mov_b32_e32 v45, v73
	v_add_f32_e32 v72, v104, v56
	v_mul_f32_e32 v44, 0xbf7d64f0, v116
	v_fmac_f32_e32 v45, 0xbe11bafb, v71
	v_add_f32_e32 v88, v45, v76
	v_fma_f32 v45, v72, s2, -v44
	v_mul_f32_e32 v74, 0x3e903f40, v117
	v_add_f32_e32 v103, v45, v77
	v_mov_b32_e32 v45, v74
	v_mul_f32_e32 v75, 0x3e903f40, v116
	v_fmac_f32_e32 v45, 0xbf75a155, v71
	v_add_f32_e32 v91, v45, v91
	v_fma_f32 v45, v72, s14, -v75
	v_sub_f32_e32 v119, v105, v108
	v_add_f32_e32 v102, v45, v102
	v_mul_f32_e32 v45, 0xbf4178ce, v119
	v_add_f32_e32 v76, v49, v52
	ds_write2_b64 v168, v[80:81], v[82:83] offset0:4 offset1:6
	v_sub_f32_e32 v118, v49, v52
	v_mov_b32_e32 v81, v45
	v_add_f32_e32 v80, v105, v108
	v_mul_f32_e32 v77, 0xbf4178ce, v118
	v_fmac_f32_e32 v81, 0xbf27a4f4, v76
	v_add_f32_e32 v88, v81, v88
	v_fma_f32 v81, v80, s3, -v77
	v_mul_f32_e32 v82, 0x3f7d64f0, v119
	ds_write2_b64 v168, v[84:85], v[98:99] offset0:8 offset1:10
	v_add_f32_e32 v98, v81, v103
	v_mov_b32_e32 v81, v82
	v_mul_f32_e32 v83, 0x3f7d64f0, v118
	v_fmac_f32_e32 v81, 0xbe11bafb, v76
	v_add_f32_e32 v91, v81, v91
	v_fma_f32 v81, v80, s2, -v83
	ds_write2_b64 v168, v[100:101], v[96:97] offset0:12 offset1:14
	v_sub_f32_e32 v101, v106, v107
	v_add_f32_e32 v99, v81, v102
	v_mul_f32_e32 v81, 0xbe903f40, v101
	v_add_f32_e32 v85, v50, v51
	v_sub_f32_e32 v100, v50, v51
	ds_write2_b64 v168, v[94:95], v[89:90] offset0:16 offset1:18
	v_mov_b32_e32 v89, v81
	v_add_f32_e32 v109, v106, v107
	v_mul_f32_e32 v84, 0xbe903f40, v100
	v_fmac_f32_e32 v89, 0xbf75a155, v85
	v_add_f32_e32 v161, v89, v88
	v_fma_f32 v88, v109, s14, -v84
	v_mul_f32_e32 v110, 0x3f0a6770, v101
	v_add_f32_e32 v162, v88, v98
	v_mov_b32_e32 v88, v110
	v_mul_f32_e32 v111, 0x3f0a6770, v100
	v_fmac_f32_e32 v88, 0x3f575c64, v85
	v_fma_f32 v89, v109, s0, -v111
	v_add_f32_e32 v90, v88, v91
	v_mul_f32_e32 v88, 0xbf7d64f0, v113
	v_add_f32_e32 v91, v89, v99
	v_fma_f32 v89, v63, s2, -v88
	v_mul_f32_e32 v96, 0x3e903f40, v115
	v_add_f32_e32 v89, v40, v89
	v_fma_f32 v94, v69, s14, -v96
	v_mul_f32_e32 v97, 0xbf7d64f0, v112
	v_add_f32_e32 v89, v94, v89
	v_mov_b32_e32 v94, v97
	v_mul_f32_e32 v98, 0x3e903f40, v114
	v_fmac_f32_e32 v94, 0xbe11bafb, v64
	v_mov_b32_e32 v95, v98
	v_add_f32_e32 v94, v41, v94
	v_fmac_f32_e32 v95, 0xbf75a155, v70
	v_mul_f32_e32 v99, 0x3f68dda4, v117
	v_add_f32_e32 v94, v95, v94
	v_fma_f32 v95, v71, s1, -v99
	v_mul_f32_e32 v102, 0x3f68dda4, v116
	v_add_f32_e32 v89, v95, v89
	v_mov_b32_e32 v95, v102
	v_fmac_f32_e32 v95, 0x3ed4b147, v72
	v_mul_f32_e32 v103, 0xbf0a6770, v119
	v_add_f32_e32 v94, v95, v94
	v_fma_f32 v95, v76, s0, -v103
	v_mul_f32_e32 v120, 0xbf0a6770, v118
	v_add_f32_e32 v89, v95, v89
	v_mov_b32_e32 v95, v120
	v_fmac_f32_e32 v95, 0x3f575c64, v80
	v_mul_f32_e32 v123, 0xbf4178ce, v101
	v_add_f32_e32 v95, v95, v94
	v_fma_f32 v94, v85, s3, -v123
	v_fmac_f32_e32 v88, 0xbe11bafb, v63
	v_add_f32_e32 v94, v94, v89
	v_add_f32_e32 v88, v40, v88
	v_fmac_f32_e32 v96, 0xbf75a155, v69
	v_fma_f32 v89, v64, s2, -v97
	v_add_f32_e32 v88, v96, v88
	v_add_f32_e32 v89, v41, v89
	v_fma_f32 v96, v70, s14, -v98
	v_add_f32_e32 v89, v96, v89
	v_fma_f32 v96, v72, s1, -v102
	v_mul_f32_e32 v121, 0xbf4178ce, v100
	v_add_f32_e32 v89, v96, v89
	v_fma_f32 v96, v80, s0, -v120
	v_fmac_f32_e32 v99, 0x3ed4b147, v71
	v_add_f32_e32 v89, v96, v89
	v_fma_f32 v96, v109, s3, -v121
	v_mul_f32_e32 v98, 0xbf4178ce, v113
	v_add_f32_e32 v88, v99, v88
	v_add_f32_e32 v89, v96, v89
	v_fma_f32 v96, v63, s3, -v98
	v_mul_f32_e32 v99, 0x3f7d64f0, v115
	v_fmac_f32_e32 v103, 0x3f575c64, v76
	v_add_f32_e32 v96, v40, v96
	v_fma_f32 v97, v69, s2, -v99
	v_mul_f32_e32 v102, 0xbf4178ce, v112
	v_add_f32_e32 v88, v103, v88
	v_add_f32_e32 v96, v97, v96
	v_mov_b32_e32 v97, v102
	v_mul_f32_e32 v103, 0x3f7d64f0, v114
	v_fmac_f32_e32 v97, 0xbf27a4f4, v64
	v_mov_b32_e32 v120, v103
	v_add_f32_e32 v97, v41, v97
	v_fmac_f32_e32 v120, 0xbe11bafb, v70
	v_add_f32_e32 v97, v120, v97
	v_mul_f32_e32 v120, 0xbf0a6770, v117
	v_mov_b32_e32 v122, v121
	v_fma_f32 v121, v71, s0, -v120
	v_fmac_f32_e32 v122, 0xbf27a4f4, v109
	v_add_f32_e32 v96, v121, v96
	v_mul_f32_e32 v121, 0xbf0a6770, v116
	v_add_f32_e32 v95, v122, v95
	v_mov_b32_e32 v122, v121
	v_fmac_f32_e32 v122, 0x3f575c64, v72
	v_fmac_f32_e32 v123, 0xbf27a4f4, v85
	v_add_f32_e32 v97, v122, v97
	v_mul_f32_e32 v122, 0xbe903f40, v119
	v_fmac_f32_e32 v98, 0xbf27a4f4, v63
	v_add_f32_e32 v88, v123, v88
	v_fma_f32 v123, v76, s14, -v122
	v_add_f32_e32 v98, v40, v98
	v_fmac_f32_e32 v99, 0xbe11bafb, v69
	v_add_f32_e32 v96, v123, v96
	v_mul_f32_e32 v123, 0xbe903f40, v118
	v_add_f32_e32 v98, v99, v98
	v_fma_f32 v99, v64, s3, -v102
	v_mov_b32_e32 v124, v123
	v_add_f32_e32 v99, v41, v99
	v_fma_f32 v102, v70, s2, -v103
	v_fmac_f32_e32 v120, 0x3f575c64, v71
	v_fmac_f32_e32 v124, 0xbf75a155, v80
	v_mul_f32_e32 v126, 0x3f68dda4, v101
	v_add_f32_e32 v99, v102, v99
	v_add_f32_e32 v98, v120, v98
	v_fma_f32 v102, v72, s0, -v121
	v_fmac_f32_e32 v122, 0xbf75a155, v76
	v_add_f32_e32 v97, v124, v97
	v_mul_f32_e32 v124, 0x3f68dda4, v100
	v_fma_f32 v127, v85, s1, -v126
	v_add_f32_e32 v99, v102, v99
	v_add_f32_e32 v98, v122, v98
	v_fma_f32 v102, v80, s14, -v123
	v_fmac_f32_e32 v126, 0x3ed4b147, v85
	v_mul_f32_e32 v113, 0xbe903f40, v113
	v_add_f32_e32 v99, v102, v99
	v_fma_f32 v103, v109, s1, -v124
	v_add_f32_e32 v102, v126, v98
	v_fma_f32 v98, v63, s14, -v113
	v_mul_f32_e32 v115, 0x3f0a6770, v115
	v_add_f32_e32 v103, v103, v99
	v_add_f32_e32 v98, v40, v98
	v_fma_f32 v99, v69, s0, -v115
	v_mul_f32_e32 v117, 0xbf4178ce, v117
	v_add_f32_e32 v98, v99, v98
	v_fma_f32 v99, v71, s3, -v117
	v_mul_f32_e32 v119, 0x3f68dda4, v119
	;; [unrolled: 3-line block ×4, first 2 shown]
	v_add_f32_e32 v98, v99, v98
	v_mov_b32_e32 v99, v112
	v_mul_f32_e32 v114, 0x3f0a6770, v114
	v_fmac_f32_e32 v99, 0xbf75a155, v64
	v_mov_b32_e32 v120, v114
	v_add_f32_e32 v99, v41, v99
	v_fmac_f32_e32 v120, 0x3f575c64, v70
	v_mul_f32_e32 v116, 0xbf4178ce, v116
	v_add_f32_e32 v99, v120, v99
	v_mov_b32_e32 v120, v116
	v_fmac_f32_e32 v120, 0xbf27a4f4, v72
	v_mul_f32_e32 v118, 0x3f68dda4, v118
	v_add_f32_e32 v99, v120, v99
	v_mov_b32_e32 v120, v118
	v_fmac_f32_e32 v120, 0x3ed4b147, v80
	v_add_f32_e32 v99, v120, v99
	v_mul_f32_e32 v120, 0xbf7d64f0, v100
	v_mov_b32_e32 v100, v120
	v_fmac_f32_e32 v100, 0xbe11bafb, v109
	v_fmac_f32_e32 v113, 0xbf75a155, v63
	v_add_f32_e32 v99, v100, v99
	v_add_f32_e32 v100, v40, v113
	v_fmac_f32_e32 v115, 0x3f575c64, v69
	v_add_f32_e32 v100, v115, v100
	v_fmac_f32_e32 v117, 0xbf27a4f4, v71
	;; [unrolled: 2-line block ×4, first 2 shown]
	v_add_f32_e32 v100, v101, v100
	v_fma_f32 v101, v64, s14, -v112
	v_add_f32_e32 v101, v41, v101
	v_fma_f32 v112, v70, s0, -v114
	;; [unrolled: 2-line block ×3, first 2 shown]
	v_mov_b32_e32 v125, v124
	v_add_f32_e32 v101, v112, v101
	v_fma_f32 v112, v80, s1, -v118
	v_fmac_f32_e32 v125, 0x3ed4b147, v109
	v_add_f32_e32 v101, v112, v101
	v_fma_f32 v112, v109, s2, -v120
	v_add_f32_e32 v96, v127, v96
	v_add_f32_e32 v97, v125, v97
	;; [unrolled: 1-line block ×3, first 2 shown]
	v_add_u32_e32 v116, 0x9a0, v87
	v_add_u32_e32 v115, 0xe70, v87
	;; [unrolled: 1-line block ×5, first 2 shown]
	ds_write_b64 v168, v[42:43] offset:160
	s_and_saveexec_b64 s[0:1], vcc
	s_cbranch_execz .LBB0_5
; %bb.4:
	v_mul_f32_e32 v42, 0x3ed4b147, v63
	v_mul_f32_e32 v87, 0x3f575c64, v63
	;; [unrolled: 1-line block ×4, first 2 shown]
	v_sub_f32_e32 v42, v42, v61
	v_mul_f32_e32 v118, 0xbe11bafb, v71
	v_mul_f32_e32 v71, 0xbf75a155, v71
	v_add_f32_e32 v42, v40, v42
	v_sub_f32_e32 v61, v69, v67
	v_mul_f32_e32 v120, 0xbf27a4f4, v76
	v_mul_f32_e32 v76, 0xbe11bafb, v76
	v_add_f32_e32 v42, v61, v42
	v_sub_f32_e32 v61, v71, v74
	v_mul_f32_e32 v117, 0x3f575c64, v64
	v_mul_f32_e32 v122, 0xbf75a155, v85
	;; [unrolled: 1-line block ×3, first 2 shown]
	v_add_f32_e32 v42, v61, v42
	v_sub_f32_e32 v61, v76, v82
	v_mul_f32_e32 v43, 0x3ed4b147, v64
	v_mul_f32_e32 v64, 0x3ed4b147, v70
	v_add_f32_e32 v42, v61, v42
	v_sub_f32_e32 v61, v85, v110
	v_add_f32_e32 v60, v60, v117
	v_mul_f32_e32 v119, 0xbe11bafb, v72
	v_add_f32_e32 v42, v61, v42
	v_add_f32_e32 v60, v41, v60
	;; [unrolled: 1-line block ×3, first 2 shown]
	v_mul_f32_e32 v121, 0xbf27a4f4, v80
	v_add_f32_e32 v60, v61, v60
	v_add_f32_e32 v44, v44, v119
	v_mul_f32_e32 v123, 0xbf75a155, v109
	v_add_f32_e32 v44, v44, v60
	v_add_f32_e32 v60, v77, v121
	;; [unrolled: 1-line block ×6, first 2 shown]
	v_sub_f32_e32 v44, v87, v59
	v_add_f32_e32 v43, v41, v43
	v_add_f32_e32 v44, v40, v44
	;; [unrolled: 1-line block ×8, first 2 shown]
	v_sub_f32_e32 v59, v63, v65
	v_add_f32_e32 v41, v41, v105
	v_add_f32_e32 v40, v40, v49
	;; [unrolled: 1-line block ×3, first 2 shown]
	v_sub_f32_e32 v59, v118, v73
	v_add_f32_e32 v41, v41, v106
	v_add_f32_e32 v40, v40, v50
	v_mul_f32_e32 v70, 0xbf27a4f4, v70
	v_add_f32_e32 v44, v59, v44
	v_sub_f32_e32 v45, v120, v45
	v_add_f32_e32 v41, v41, v107
	v_add_f32_e32 v40, v40, v51
	v_mul_f32_e32 v72, 0xbf75a155, v72
	v_add_f32_e32 v62, v68, v70
	v_add_f32_e32 v44, v45, v44
	v_sub_f32_e32 v45, v122, v81
	v_add_f32_e32 v41, v41, v108
	v_add_f32_e32 v40, v40, v52
	v_mul_f32_e32 v80, 0xbe11bafb, v80
	v_add_f32_e32 v43, v62, v43
	v_add_f32_e32 v62, v75, v72
	;; [unrolled: 1-line block ×5, first 2 shown]
	v_mul_u32_u24_e32 v44, 22, v167
	v_mul_f32_e32 v109, 0x3f575c64, v109
	v_add_f32_e32 v43, v62, v43
	v_add_f32_e32 v62, v83, v80
	;; [unrolled: 1-line block ×4, first 2 shown]
	v_or_b32_e32 v44, v44, v166
	v_add_f32_e32 v43, v62, v43
	v_add_f32_e32 v62, v111, v109
	;; [unrolled: 1-line block ×4, first 2 shown]
	v_lshl_add_u32 v44, v44, 3, v165
	v_add_f32_e32 v43, v62, v43
	ds_write2_b64 v44, v[40:41], v[59:60] offset1:2
	ds_write2_b64 v44, v[42:43], v[94:95] offset0:4 offset1:6
	ds_write2_b64 v44, v[96:97], v[98:99] offset0:8 offset1:10
	;; [unrolled: 1-line block ×4, first 2 shown]
	ds_write_b64 v44, v[161:162] offset:160
.LBB0_5:
	s_or_b64 exec, exec, s[0:1]
	v_lshrrev_b16_e32 v40, 1, v163
	v_and_b32_e32 v40, 0x7f, v40
	v_mul_lo_u16_e32 v40, 0xbb, v40
	v_lshrrev_b16_e32 v108, 11, v40
	v_lshrrev_b16_e32 v46, 1, v86
	v_mul_lo_u16_e32 v40, 22, v108
	v_and_b32_e32 v46, 0x7f, v46
	v_sub_u16_e32 v40, v163, v40
	v_mul_lo_u16_e32 v46, 0xbb, v46
	v_and_b32_e32 v109, 0xff, v40
	v_lshrrev_b16_e32 v110, 11, v46
	v_mad_u64_u32 v[44:45], s[0:1], v109, 48, s[10:11]
	v_mul_lo_u16_e32 v46, 22, v110
	v_sub_u16_e32 v46, v86, v46
	v_and_b32_e32 v111, 0xff, v46
	v_mad_u64_u32 v[46:47], s[0:1], v111, 48, s[10:11]
	s_waitcnt lgkmcnt(0)
	s_barrier
	global_load_dwordx4 v[40:43], v[44:45], off offset:176
	global_load_dwordx4 v[48:51], v[44:45], off offset:160
	;; [unrolled: 1-line block ×5, first 2 shown]
                                        ; kill: killed $vgpr44_vgpr45
	s_nop 0
	global_load_dwordx4 v[44:47], v[46:47], off offset:192
	v_add_u32_e32 v175, 0x800, v164
	ds_read2_b64 v[64:67], v164 offset1:77
	ds_read2_b64 v[68:71], v164 offset0:154 offset1:231
	v_add_u32_e32 v174, 0xc00, v164
	v_add_u32_e32 v173, 0x1000, v164
	;; [unrolled: 1-line block ×3, first 2 shown]
	ds_read2_b64 v[72:75], v175 offset0:52 offset1:129
	ds_read2_b64 v[76:79], v174 offset0:78 offset1:155
	;; [unrolled: 1-line block ×5, first 2 shown]
	s_mov_b32 s2, 0x3f5ff5aa
	s_mov_b32 s14, 0x3f3bfb3b
	;; [unrolled: 1-line block ×4, first 2 shown]
	v_mul_u32_u24_e32 v108, 0x9a, v108
	v_add_u32_e32 v108, v108, v109
	s_waitcnt vmcnt(0) lgkmcnt(0)
	s_barrier
	v_add_u32_e32 v194, 0x400, v164
	v_mul_f32_e32 v125, v85, v61
	v_mul_f32_e32 v127, v105, v63
	;; [unrolled: 1-line block ×13, first 2 shown]
	v_fma_f32 v68, v68, v48, -v117
	v_fmac_f32_e32 v118, v69, v48
	v_fma_f32 v69, v72, v50, -v119
	v_fma_f32 v72, v76, v40, -v121
	v_fmac_f32_e32 v122, v77, v40
	v_fma_f32 v76, v84, v60, -v125
	v_fma_f32 v77, v104, v62, -v127
	v_mul_f32_e32 v124, v80, v43
	v_mul_f32_e32 v130, v70, v57
	;; [unrolled: 1-line block ×6, first 2 shown]
	v_fmac_f32_e32 v120, v73, v50
	v_fma_f32 v73, v80, v42, -v123
	v_fmac_f32_e32 v126, v85, v60
	v_fmac_f32_e32 v128, v105, v62
	v_fma_f32 v80, v70, v56, -v129
	v_fmac_f32_e32 v169, v75, v58
	v_add_f32_e32 v70, v68, v77
	v_add_f32_e32 v75, v69, v76
	v_mul_f32_e32 v171, v78, v53
	v_mul_f32_e32 v176, v83, v55
	;; [unrolled: 1-line block ×3, first 2 shown]
	v_fmac_f32_e32 v124, v81, v42
	v_fmac_f32_e32 v130, v71, v56
	v_fma_f32 v84, v78, v52, -v170
	v_fmac_f32_e32 v177, v83, v54
	v_fma_f32 v83, v86, v44, -v178
	v_add_f32_e32 v71, v118, v128
	v_sub_f32_e32 v68, v68, v77
	v_add_f32_e32 v77, v120, v126
	v_add_f32_e32 v78, v72, v73
	;; [unrolled: 1-line block ×3, first 2 shown]
	v_fmac_f32_e32 v171, v79, v52
	v_fmac_f32_e32 v179, v87, v44
	v_add_f32_e32 v79, v122, v124
	v_add_f32_e32 v87, v77, v71
	v_sub_f32_e32 v104, v75, v70
	v_sub_f32_e32 v70, v70, v78
	;; [unrolled: 1-line block ×3, first 2 shown]
	v_add_f32_e32 v78, v78, v86
	v_mul_f32_e32 v180, v107, v47
	v_sub_f32_e32 v69, v69, v76
	v_sub_f32_e32 v72, v73, v72
	v_sub_f32_e32 v105, v77, v71
	v_sub_f32_e32 v71, v71, v79
	v_sub_f32_e32 v77, v79, v77
	v_add_f32_e32 v79, v79, v87
	v_add_f32_e32 v64, v64, v78
	v_mul_f32_e32 v181, v106, v47
	v_fma_f32 v81, v74, v58, -v131
	v_fma_f32 v85, v106, v46, -v180
	v_sub_f32_e32 v74, v118, v128
	v_sub_f32_e32 v76, v120, v126
	;; [unrolled: 1-line block ×3, first 2 shown]
	v_add_f32_e32 v106, v72, v69
	v_sub_f32_e32 v117, v72, v69
	v_sub_f32_e32 v69, v69, v68
	v_add_f32_e32 v65, v65, v79
	v_mov_b32_e32 v119, v64
	v_fmac_f32_e32 v181, v107, v46
	v_add_f32_e32 v107, v73, v76
	v_sub_f32_e32 v118, v73, v76
	v_sub_f32_e32 v72, v68, v72
	;; [unrolled: 1-line block ×3, first 2 shown]
	v_add_f32_e32 v68, v106, v68
	v_mul_f32_e32 v70, 0x3f4a47b2, v70
	v_mul_f32_e32 v71, 0x3f4a47b2, v71
	;; [unrolled: 1-line block ×6, first 2 shown]
	v_fmac_f32_e32 v119, 0xbf955555, v78
	v_mov_b32_e32 v78, v65
	v_sub_f32_e32 v73, v74, v73
	v_add_f32_e32 v74, v107, v74
	v_mul_f32_e32 v107, 0xbf08b237, v118
	v_mul_f32_e32 v118, 0x3f5ff5aa, v76
	v_fmac_f32_e32 v78, 0xbf955555, v79
	v_fma_f32 v79, v104, s14, -v86
	v_fma_f32 v86, v105, s14, -v87
	;; [unrolled: 1-line block ×3, first 2 shown]
	v_fmac_f32_e32 v70, 0x3d64c772, v75
	v_fma_f32 v75, v105, s3, -v71
	v_fmac_f32_e32 v71, 0x3d64c772, v77
	v_fma_f32 v77, v69, s2, -v106
	v_fma_f32 v104, v72, s15, -v117
	v_fmac_f32_e32 v106, 0x3eae86e6, v72
	v_fma_f32 v76, v76, s2, -v107
	v_fmac_f32_e32 v107, 0x3eae86e6, v73
	v_fma_f32 v105, v73, s15, -v118
	v_add_f32_e32 v118, v71, v78
	v_add_f32_e32 v86, v86, v78
	v_add_f32_e32 v78, v75, v78
	v_fmac_f32_e32 v77, 0x3ee1c552, v68
	v_fmac_f32_e32 v104, 0x3ee1c552, v68
	v_fma_f32 v82, v82, v54, -v176
	v_add_f32_e32 v117, v70, v119
	v_add_f32_e32 v79, v79, v119
	;; [unrolled: 1-line block ×3, first 2 shown]
	v_fmac_f32_e32 v106, 0x3ee1c552, v68
	v_fmac_f32_e32 v107, 0x3ee1c552, v74
	;; [unrolled: 1-line block ×4, first 2 shown]
	v_sub_f32_e32 v71, v78, v104
	v_add_f32_e32 v73, v77, v86
	v_sub_f32_e32 v75, v86, v77
	v_add_f32_e32 v77, v104, v78
	v_add_f32_e32 v86, v80, v85
	;; [unrolled: 1-line block ×4, first 2 shown]
	v_sub_f32_e32 v69, v118, v106
	v_add_f32_e32 v70, v105, v87
	v_sub_f32_e32 v72, v79, v76
	v_add_f32_e32 v74, v76, v79
	v_sub_f32_e32 v76, v87, v105
	v_sub_f32_e32 v78, v117, v107
	v_add_f32_e32 v79, v106, v118
	v_add_f32_e32 v87, v130, v181
	;; [unrolled: 1-line block ×7, first 2 shown]
	v_sub_f32_e32 v119, v104, v86
	v_sub_f32_e32 v86, v86, v106
	;; [unrolled: 1-line block ×3, first 2 shown]
	v_add_f32_e32 v106, v106, v117
	v_sub_f32_e32 v81, v81, v83
	v_sub_f32_e32 v83, v169, v179
	;; [unrolled: 1-line block ×7, first 2 shown]
	v_add_f32_e32 v107, v107, v118
	v_add_f32_e32 v66, v66, v106
	v_sub_f32_e32 v80, v80, v85
	v_sub_f32_e32 v85, v130, v181
	v_add_f32_e32 v121, v82, v81
	v_add_f32_e32 v122, v84, v83
	v_sub_f32_e32 v123, v82, v81
	v_sub_f32_e32 v124, v84, v83
	v_add_f32_e32 v67, v67, v107
	v_mov_b32_e32 v125, v66
	v_lshl_add_u32 v169, v108, 3, v165
	v_sub_f32_e32 v82, v80, v82
	v_sub_f32_e32 v84, v85, v84
	v_sub_f32_e32 v81, v81, v80
	v_sub_f32_e32 v83, v83, v85
	v_add_f32_e32 v80, v121, v80
	v_add_f32_e32 v85, v122, v85
	v_mul_f32_e32 v86, 0x3f4a47b2, v86
	v_mul_f32_e32 v87, 0x3f4a47b2, v87
	;; [unrolled: 1-line block ×6, first 2 shown]
	v_fmac_f32_e32 v125, 0xbf955555, v106
	v_mov_b32_e32 v106, v67
	ds_write2_b64 v169, v[64:65], v[68:69] offset1:22
	ds_write2_b64 v169, v[70:71], v[72:73] offset0:44 offset1:66
	ds_write2_b64 v169, v[74:75], v[76:77] offset0:88 offset1:110
	ds_write_b64 v169, v[78:79] offset:1056
	v_mad_u64_u32 v[72:73], s[0:1], v163, 48, s[10:11]
	v_mul_f32_e32 v123, 0x3f5ff5aa, v81
	v_mul_f32_e32 v124, 0x3f5ff5aa, v83
	v_fmac_f32_e32 v106, 0xbf955555, v107
	v_fma_f32 v107, v119, s14, -v117
	v_fma_f32 v117, v120, s14, -v118
	;; [unrolled: 1-line block ×3, first 2 shown]
	v_fmac_f32_e32 v86, 0x3d64c772, v104
	v_fma_f32 v104, v120, s3, -v87
	v_fmac_f32_e32 v87, 0x3d64c772, v105
	v_fma_f32 v105, v81, s2, -v121
	;; [unrolled: 2-line block ×3, first 2 shown]
	v_fmac_f32_e32 v122, 0x3eae86e6, v84
	v_mul_u32_u24_e32 v64, 0x9a, v110
	v_fma_f32 v120, v82, s15, -v123
	v_fma_f32 v123, v84, s15, -v124
	v_add_f32_e32 v124, v86, v125
	v_add_f32_e32 v126, v87, v106
	v_fmac_f32_e32 v121, 0x3ee1c552, v80
	v_fmac_f32_e32 v122, 0x3ee1c552, v85
	v_add_u32_e32 v64, v64, v111
	v_add_f32_e32 v86, v107, v125
	v_add_f32_e32 v87, v117, v106
	;; [unrolled: 1-line block ×4, first 2 shown]
	v_fmac_f32_e32 v105, 0x3ee1c552, v80
	v_fmac_f32_e32 v119, 0x3ee1c552, v85
	v_fmac_f32_e32 v120, 0x3ee1c552, v80
	v_fmac_f32_e32 v123, 0x3ee1c552, v85
	v_add_f32_e32 v80, v122, v124
	v_sub_f32_e32 v81, v126, v121
	v_lshl_add_u32 v170, v64, 3, v165
	v_add_f32_e32 v82, v123, v107
	v_sub_f32_e32 v83, v106, v120
	v_sub_f32_e32 v84, v86, v119
	v_add_f32_e32 v85, v105, v87
	v_add_f32_e32 v86, v119, v86
	v_sub_f32_e32 v87, v87, v105
	v_sub_f32_e32 v104, v107, v123
	v_add_f32_e32 v105, v120, v106
	v_sub_f32_e32 v106, v124, v122
	v_add_f32_e32 v107, v121, v126
	ds_write2_b64 v170, v[66:67], v[80:81] offset1:22
	ds_write2_b64 v170, v[82:83], v[84:85] offset0:44 offset1:66
	ds_write2_b64 v170, v[86:87], v[104:105] offset0:88 offset1:110
	ds_write_b64 v170, v[106:107] offset:1056
	s_waitcnt lgkmcnt(0)
	s_barrier
	global_load_dwordx4 v[76:79], v[72:73], off offset:1216
	global_load_dwordx4 v[68:71], v[72:73], off offset:1232
	;; [unrolled: 1-line block ×3, first 2 shown]
	s_movk_i32 s0, 0x1000
	v_add_co_u32_e64 v74, s[0:1], s0, v72
	v_addc_co_u32_e64 v75, s[0:1], 0, v73, s[0:1]
	global_load_dwordx4 v[84:87], v[74:75], off offset:816
	s_movk_i32 s0, 0x1330
	v_add_co_u32_e64 v72, s[0:1], s0, v72
	v_addc_co_u32_e64 v73, s[0:1], 0, v73, s[0:1]
	global_load_dwordx4 v[80:83], v[72:73], off offset:16
	s_nop 0
	global_load_dwordx4 v[72:75], v[72:73], off offset:32
	v_lshlrev_b32_e32 v104, 3, v163
	v_mov_b32_e32 v105, s9
	v_add_co_u32_e64 v131, s[0:1], s8, v104
	v_addc_co_u32_e64 v188, s[0:1], 0, v105, s[0:1]
	ds_read2_b64 v[104:107], v164 offset1:77
	ds_read2_b64 v[108:111], v164 offset0:154 offset1:231
	ds_read2_b64 v[117:120], v175 offset0:52 offset1:129
	;; [unrolled: 1-line block ×6, first 2 shown]
	s_movk_i32 s0, 0x2000
	s_waitcnt vmcnt(5) lgkmcnt(5)
	v_mul_f32_e32 v129, v109, v77
	v_fma_f32 v129, v108, v76, -v129
	v_mul_f32_e32 v108, v108, v77
	v_fmac_f32_e32 v108, v109, v76
	s_waitcnt lgkmcnt(4)
	v_mul_f32_e32 v109, v118, v79
	v_fma_f32 v109, v117, v78, -v109
	v_mul_f32_e32 v117, v117, v79
	v_fmac_f32_e32 v117, v118, v78
	s_waitcnt vmcnt(4) lgkmcnt(3)
	v_mul_f32_e32 v118, v122, v69
	v_fma_f32 v118, v121, v68, -v118
	v_mul_f32_e32 v121, v121, v69
	v_fmac_f32_e32 v121, v122, v68
	s_waitcnt lgkmcnt(2)
	v_mul_f32_e32 v122, v126, v71
	v_fma_f32 v122, v125, v70, -v122
	v_mul_f32_e32 v125, v125, v71
	s_waitcnt vmcnt(3) lgkmcnt(1)
	v_mul_f32_e32 v130, v176, v65
	v_fmac_f32_e32 v125, v126, v70
	v_mul_f32_e32 v126, v177, v65
	v_fmac_f32_e32 v130, v177, v64
	s_waitcnt lgkmcnt(0)
	v_mul_f32_e32 v171, v181, v67
	s_waitcnt vmcnt(2)
	v_mul_f32_e32 v177, v111, v85
	v_fma_f32 v126, v176, v64, -v126
	v_fma_f32 v171, v180, v66, -v171
	v_mul_f32_e32 v176, v180, v67
	v_fma_f32 v177, v110, v84, -v177
	v_mul_f32_e32 v180, v110, v85
	v_mul_f32_e32 v110, v120, v87
	v_fmac_f32_e32 v176, v181, v66
	v_fma_f32 v181, v119, v86, -v110
	s_waitcnt vmcnt(1)
	v_mul_f32_e32 v110, v124, v81
	v_fma_f32 v185, v123, v80, -v110
	v_mul_f32_e32 v110, v128, v83
	v_fma_f32 v187, v127, v82, -v110
	v_mul_f32_e32 v127, v127, v83
	s_waitcnt vmcnt(0)
	v_mul_f32_e32 v110, v179, v73
	v_mul_f32_e32 v184, v119, v87
	v_fmac_f32_e32 v127, v128, v82
	v_fma_f32 v128, v178, v72, -v110
	v_mul_f32_e32 v178, v178, v73
	v_mul_f32_e32 v110, v183, v75
	v_fmac_f32_e32 v184, v120, v86
	v_mul_f32_e32 v186, v123, v81
	v_fmac_f32_e32 v178, v179, v72
	v_fma_f32 v179, v182, v74, -v110
	v_add_f32_e32 v110, v129, v171
	v_add_f32_e32 v120, v109, v126
	v_fmac_f32_e32 v180, v111, v84
	v_fmac_f32_e32 v186, v124, v80
	v_add_f32_e32 v111, v108, v176
	v_add_f32_e32 v123, v117, v130
	;; [unrolled: 1-line block ×3, first 2 shown]
	v_sub_f32_e32 v118, v122, v118
	v_add_f32_e32 v122, v120, v110
	v_sub_f32_e32 v109, v109, v126
	v_add_f32_e32 v126, v121, v125
	;; [unrolled: 2-line block ×3, first 2 shown]
	v_add_f32_e32 v122, v124, v122
	v_mul_f32_e32 v182, v182, v75
	v_sub_f32_e32 v119, v129, v171
	v_sub_f32_e32 v117, v117, v130
	;; [unrolled: 1-line block ×5, first 2 shown]
	v_add_f32_e32 v124, v126, v125
	v_add_f32_e32 v104, v104, v122
	v_fmac_f32_e32 v182, v183, v74
	v_sub_f32_e32 v108, v108, v176
	v_sub_f32_e32 v130, v123, v111
	;; [unrolled: 1-line block ×4, first 2 shown]
	v_add_f32_e32 v171, v118, v109
	v_add_f32_e32 v176, v121, v117
	v_sub_f32_e32 v183, v118, v109
	v_sub_f32_e32 v189, v121, v117
	v_add_f32_e32 v105, v105, v124
	v_mov_b32_e32 v190, v104
	v_sub_f32_e32 v118, v119, v118
	v_sub_f32_e32 v121, v108, v121
	;; [unrolled: 1-line block ×4, first 2 shown]
	v_add_f32_e32 v119, v171, v119
	v_add_f32_e32 v108, v176, v108
	v_mul_f32_e32 v110, 0x3f4a47b2, v110
	v_mul_f32_e32 v111, 0x3f4a47b2, v111
	;; [unrolled: 1-line block ×6, first 2 shown]
	v_fmac_f32_e32 v190, 0xbf955555, v122
	v_mov_b32_e32 v122, v105
	v_mul_f32_e32 v183, 0x3f5ff5aa, v109
	v_mul_f32_e32 v189, 0x3f5ff5aa, v117
	v_fmac_f32_e32 v122, 0xbf955555, v124
	v_fma_f32 v124, v129, s14, -v125
	v_fma_f32 v125, v130, s14, -v126
	;; [unrolled: 1-line block ×3, first 2 shown]
	v_fmac_f32_e32 v110, 0x3d64c772, v120
	v_fma_f32 v120, v130, s3, -v111
	v_fmac_f32_e32 v111, 0x3d64c772, v123
	v_fma_f32 v123, v109, s2, -v171
	;; [unrolled: 2-line block ×4, first 2 shown]
	v_fma_f32 v121, v121, s15, -v189
	v_add_f32_e32 v189, v111, v122
	v_add_f32_e32 v124, v124, v190
	;; [unrolled: 1-line block ×3, first 2 shown]
	v_fmac_f32_e32 v171, 0x3ee1c552, v119
	v_fmac_f32_e32 v123, 0x3ee1c552, v119
	;; [unrolled: 1-line block ×3, first 2 shown]
	v_add_f32_e32 v183, v110, v190
	v_add_f32_e32 v126, v126, v190
	;; [unrolled: 1-line block ×3, first 2 shown]
	v_fmac_f32_e32 v176, 0x3ee1c552, v108
	v_fmac_f32_e32 v130, 0x3ee1c552, v119
	;; [unrolled: 1-line block ×3, first 2 shown]
	v_sub_f32_e32 v109, v189, v171
	v_sub_f32_e32 v117, v124, v129
	v_add_f32_e32 v118, v123, v125
	v_add_f32_e32 v119, v129, v124
	v_sub_f32_e32 v120, v125, v123
	v_add_f32_e32 v124, v171, v189
	v_add_f32_e32 v125, v177, v179
	;; [unrolled: 1-line block ×5, first 2 shown]
	v_sub_f32_e32 v121, v126, v121
	v_sub_f32_e32 v123, v183, v176
	v_add_f32_e32 v126, v180, v182
	v_sub_f32_e32 v129, v177, v179
	v_add_f32_e32 v176, v184, v178
	v_sub_f32_e32 v128, v181, v128
	v_sub_f32_e32 v177, v184, v178
	v_add_f32_e32 v178, v185, v187
	v_add_f32_e32 v181, v171, v125
	v_sub_f32_e32 v111, v122, v130
	v_add_f32_e32 v122, v130, v122
	v_sub_f32_e32 v130, v180, v182
	v_add_f32_e32 v179, v186, v127
	v_add_f32_e32 v182, v176, v126
	v_sub_f32_e32 v183, v171, v125
	v_sub_f32_e32 v125, v125, v178
	v_sub_f32_e32 v171, v178, v171
	v_add_f32_e32 v178, v178, v181
	v_sub_f32_e32 v180, v187, v185
	v_sub_f32_e32 v127, v127, v186
	;; [unrolled: 1-line block ×5, first 2 shown]
	v_add_f32_e32 v179, v179, v182
	v_add_f32_e32 v106, v106, v178
	;; [unrolled: 1-line block ×4, first 2 shown]
	v_sub_f32_e32 v187, v180, v128
	v_sub_f32_e32 v189, v127, v177
	;; [unrolled: 1-line block ×3, first 2 shown]
	v_add_f32_e32 v107, v107, v179
	v_mov_b32_e32 v190, v106
	v_sub_f32_e32 v180, v129, v180
	v_sub_f32_e32 v127, v130, v127
	;; [unrolled: 1-line block ×3, first 2 shown]
	v_add_f32_e32 v129, v185, v129
	v_add_f32_e32 v130, v186, v130
	v_mul_f32_e32 v125, 0x3f4a47b2, v125
	v_mul_f32_e32 v126, 0x3f4a47b2, v126
	;; [unrolled: 1-line block ×7, first 2 shown]
	v_fmac_f32_e32 v190, 0xbf955555, v178
	v_mov_b32_e32 v178, v107
	v_mul_f32_e32 v189, 0x3f5ff5aa, v177
	v_fmac_f32_e32 v178, 0xbf955555, v179
	v_fma_f32 v179, v183, s14, -v181
	v_fma_f32 v181, v184, s14, -v182
	;; [unrolled: 1-line block ×3, first 2 shown]
	v_fmac_f32_e32 v125, 0x3d64c772, v171
	v_fma_f32 v171, v184, s3, -v126
	v_fmac_f32_e32 v126, 0x3d64c772, v176
	v_fma_f32 v183, v128, s2, -v185
	;; [unrolled: 2-line block ×3, first 2 shown]
	v_fma_f32 v180, v180, s15, -v187
	v_fmac_f32_e32 v186, 0x3eae86e6, v127
	v_fma_f32 v184, v127, s15, -v189
	v_add_f32_e32 v177, v179, v190
	v_add_f32_e32 v179, v181, v178
	v_add_f32_e32 v171, v171, v178
	v_fmac_f32_e32 v183, 0x3ee1c552, v129
	v_fmac_f32_e32 v176, 0x3ee1c552, v130
	;; [unrolled: 1-line block ×6, first 2 shown]
	v_sub_f32_e32 v128, v171, v180
	v_sub_f32_e32 v129, v177, v176
	v_add_f32_e32 v130, v183, v179
	v_add_f32_e32 v176, v176, v177
	v_sub_f32_e32 v177, v179, v183
	v_add_f32_e32 v179, v180, v171
	v_lshl_add_u32 v171, v163, 3, v165
	v_add_f32_e32 v187, v125, v190
	v_add_f32_e32 v189, v126, v178
	;; [unrolled: 1-line block ×3, first 2 shown]
	ds_write2_b64 v194, v[108:109], v[110:111] offset0:26 offset1:180
	ds_write_b64 v164, v[117:118] offset:3696
	v_add_u32_e32 v108, 0x1200, v171
	v_add_f32_e32 v125, v186, v187
	v_sub_f32_e32 v126, v189, v185
	v_add_f32_e32 v127, v184, v181
	ds_write2_b64 v108, v[119:120], v[121:122] offset0:40 offset1:194
	ds_write_b64 v171, v[123:124] offset:7392
	ds_write2_b64 v164, v[104:105], v[106:107] offset1:77
	v_add_u32_e32 v104, 0x600, v164
	v_sub_f32_e32 v178, v181, v184
	v_sub_f32_e32 v180, v187, v186
	v_add_f32_e32 v181, v185, v189
	ds_write2_b64 v104, v[125:126], v[127:128] offset0:39 offset1:193
	ds_write2_b64 v173, v[129:130], v[176:177] offset0:27 offset1:181
	;; [unrolled: 1-line block ×3, first 2 shown]
	v_add_co_u32_e64 v104, s[0:1], s0, v131
	v_addc_co_u32_e64 v105, s[0:1], 0, v188, s[0:1]
	s_movk_i32 s0, 0x3000
	s_waitcnt lgkmcnt(0)
	s_barrier
	global_load_dwordx2 v[117:118], v[104:105], off offset:432
	v_add_co_u32_e64 v104, s[0:1], s0, v131
	v_addc_co_u32_e64 v105, s[0:1], 0, v188, s[0:1]
	global_load_dwordx2 v[119:120], v[104:105], off offset:648
	s_movk_i32 s2, 0x21b0
	v_add_co_u32_e64 v106, s[0:1], s2, v131
	v_addc_co_u32_e64 v107, s[0:1], 0, v188, s[0:1]
	global_load_dwordx2 v[121:122], v[106:107], off offset:616
	global_load_dwordx2 v[123:124], v[104:105], off offset:1264
	;; [unrolled: 1-line block ×11, first 2 shown]
	s_movk_i32 s0, 0x4000
	v_add_co_u32_e64 v104, s[0:1], s0, v131
	v_addc_co_u32_e64 v105, s[0:1], 0, v188, s[0:1]
	global_load_dwordx2 v[188:189], v[104:105], off offset:248
	ds_read2_b64 v[104:107], v164 offset1:77
	ds_read2_b64 v[108:111], v174 offset0:78 offset1:155
	s_waitcnt vmcnt(13) lgkmcnt(1)
	v_mul_f32_e32 v131, v105, v118
	v_fma_f32 v190, v104, v117, -v131
	v_mul_f32_e32 v191, v104, v118
	v_fmac_f32_e32 v191, v105, v117
	s_waitcnt vmcnt(11)
	v_mul_f32_e32 v105, v106, v122
	s_waitcnt lgkmcnt(0)
	v_mul_f32_e32 v104, v111, v120
	v_fma_f32 v192, v110, v119, -v104
	v_mul_f32_e32 v193, v110, v120
	v_mul_f32_e32 v104, v107, v122
	v_fmac_f32_e32 v193, v111, v119
	v_fma_f32 v104, v106, v121, -v104
	ds_read2_b64 v[117:120], v173 offset0:104 offset1:181
	v_fmac_f32_e32 v105, v107, v121
	ds_write2_b64 v164, v[190:191], v[104:105] offset1:77
	ds_read2_b64 v[104:107], v164 offset0:154 offset1:231
	s_waitcnt vmcnt(10) lgkmcnt(2)
	v_mul_f32_e32 v110, v118, v124
	v_fma_f32 v110, v117, v123, -v110
	v_mul_f32_e32 v111, v117, v124
	s_waitcnt vmcnt(9) lgkmcnt(0)
	v_mul_f32_e32 v117, v105, v126
	v_mul_f32_e32 v122, v104, v126
	v_fma_f32 v121, v104, v125, -v117
	v_fmac_f32_e32 v122, v105, v125
	s_waitcnt vmcnt(8)
	v_mul_f32_e32 v104, v120, v128
	v_mul_f32_e32 v105, v119, v128
	v_fmac_f32_e32 v111, v118, v123
	v_fma_f32 v104, v119, v127, -v104
	v_fmac_f32_e32 v105, v120, v127
	ds_write2_b64 v173, v[110:111], v[104:105] offset0:104 offset1:181
	s_waitcnt vmcnt(7)
	v_mul_f32_e32 v104, v107, v130
	v_mul_f32_e32 v105, v106, v130
	v_fma_f32 v104, v106, v129, -v104
	ds_read2_b64 v[117:120], v172 offset0:2 offset1:79
	v_fmac_f32_e32 v105, v107, v129
	ds_write2_b64 v164, v[121:122], v[104:105] offset0:154 offset1:231
	ds_read2_b64 v[104:107], v175 offset0:52 offset1:129
	s_waitcnt vmcnt(6) lgkmcnt(2)
	v_mul_f32_e32 v110, v118, v177
	v_fma_f32 v110, v117, v176, -v110
	v_mul_f32_e32 v111, v117, v177
	s_waitcnt vmcnt(5) lgkmcnt(0)
	v_mul_f32_e32 v117, v105, v179
	v_mul_f32_e32 v122, v104, v179
	v_fma_f32 v121, v104, v178, -v117
	v_fmac_f32_e32 v122, v105, v178
	s_waitcnt vmcnt(4)
	v_mul_f32_e32 v104, v120, v181
	v_mul_f32_e32 v105, v119, v181
	v_fmac_f32_e32 v111, v118, v176
	v_fma_f32 v104, v119, v180, -v104
	v_fmac_f32_e32 v105, v120, v180
	ds_read2_b64 v[117:120], v172 offset0:156 offset1:233
	ds_write2_b64 v172, v[110:111], v[104:105] offset0:2 offset1:79
	s_waitcnt vmcnt(3)
	v_mul_f32_e32 v104, v107, v183
	v_mul_f32_e32 v105, v106, v183
	v_fma_f32 v104, v106, v182, -v104
	v_fmac_f32_e32 v105, v107, v182
	s_waitcnt vmcnt(1)
	v_mul_f32_e32 v106, v109, v187
	v_mul_f32_e32 v107, v108, v187
	v_fma_f32 v106, v108, v186, -v106
	v_fmac_f32_e32 v107, v109, v186
	ds_write2_b64 v175, v[121:122], v[104:105] offset0:52 offset1:129
	s_waitcnt lgkmcnt(2)
	v_mul_f32_e32 v104, v118, v185
	v_mul_f32_e32 v105, v117, v185
	ds_write2_b64 v174, v[106:107], v[192:193] offset0:78 offset1:155
	s_waitcnt vmcnt(0)
	v_mul_f32_e32 v106, v120, v189
	v_mul_f32_e32 v107, v119, v189
	v_fma_f32 v104, v117, v184, -v104
	v_fmac_f32_e32 v105, v118, v184
	v_fma_f32 v106, v119, v188, -v106
	v_fmac_f32_e32 v107, v120, v188
	ds_write2_b64 v172, v[104:105], v[106:107] offset0:156 offset1:233
	s_waitcnt lgkmcnt(0)
	s_barrier
	ds_read2_b64 v[104:107], v164 offset1:77
	ds_read2_b64 v[108:111], v174 offset0:78 offset1:155
	ds_read2_b64 v[117:120], v173 offset0:104 offset1:181
	;; [unrolled: 1-line block ×6, first 2 shown]
	s_waitcnt lgkmcnt(4)
	v_sub_f32_e32 v190, v106, v117
	v_sub_f32_e32 v191, v107, v118
	;; [unrolled: 1-line block ×4, first 2 shown]
	v_fma_f32 v188, v106, 2.0, -v190
	v_fma_f32 v189, v107, 2.0, -v191
	s_waitcnt lgkmcnt(3)
	v_sub_f32_e32 v119, v121, v119
	v_sub_f32_e32 v120, v122, v120
	s_waitcnt lgkmcnt(2)
	v_sub_f32_e32 v125, v123, v125
	v_sub_f32_e32 v126, v124, v126
	s_waitcnt lgkmcnt(1)
	v_sub_f32_e32 v129, v176, v127
	v_sub_f32_e32 v130, v177, v128
	s_waitcnt lgkmcnt(0)
	v_sub_f32_e32 v106, v178, v180
	v_sub_f32_e32 v107, v179, v181
	v_fma_f32 v184, v104, 2.0, -v186
	v_fma_f32 v185, v105, 2.0, -v187
	;; [unrolled: 1-line block ×10, first 2 shown]
	v_sub_f32_e32 v110, v108, v182
	v_sub_f32_e32 v111, v109, v183
	v_fma_f32 v108, v108, 2.0, -v110
	v_fma_f32 v109, v109, 2.0, -v111
	s_barrier
	ds_write_b128 v92, v[184:187]
	ds_write_b128 v93, v[188:191]
	;; [unrolled: 1-line block ×7, first 2 shown]
	s_waitcnt lgkmcnt(0)
	s_barrier
	ds_read2_b64 v[112:115], v164 offset1:98
	ds_read2_b64 v[128:131], v194 offset0:68 offset1:166
	ds_read2_b64 v[124:127], v175 offset0:136 offset1:234
	;; [unrolled: 1-line block ×4, first 2 shown]
	ds_read_b64 v[104:105], v164 offset:7840
	s_and_saveexec_b64 s[0:1], vcc
	s_cbranch_execz .LBB0_7
; %bb.6:
	ds_read2_b64 v[106:109], v164 offset0:77 offset1:175
	ds_read2_b64 v[92:95], v175 offset0:17 offset1:115
	;; [unrolled: 1-line block ×5, first 2 shown]
	ds_read_b64 v[161:162], v164 offset:8456
	s_waitcnt lgkmcnt(4)
	v_mov_b32_e32 v110, v92
	v_mov_b32_e32 v111, v93
.LBB0_7:
	s_or_b64 exec, exec, s[0:1]
	s_waitcnt lgkmcnt(5)
	v_mul_f32_e32 v93, v33, v115
	v_mul_f32_e32 v33, v33, v114
	v_fmac_f32_e32 v93, v32, v114
	v_fma_f32 v32, v32, v115, -v33
	s_waitcnt lgkmcnt(4)
	v_mul_f32_e32 v33, v35, v129
	v_mul_f32_e32 v35, v35, v128
	v_fmac_f32_e32 v33, v34, v128
	v_fma_f32 v34, v34, v129, -v35
	v_mul_f32_e32 v35, v29, v131
	v_mul_f32_e32 v29, v29, v130
	v_fmac_f32_e32 v35, v28, v130
	v_fma_f32 v28, v28, v131, -v29
	s_waitcnt lgkmcnt(3)
	v_mul_f32_e32 v29, v31, v125
	v_mul_f32_e32 v31, v31, v124
	v_fmac_f32_e32 v29, v30, v124
	v_fma_f32 v30, v30, v125, -v31
	v_mul_f32_e32 v31, v25, v127
	v_mul_f32_e32 v25, v25, v126
	v_fmac_f32_e32 v31, v24, v126
	v_fma_f32 v24, v24, v127, -v25
	s_waitcnt lgkmcnt(2)
	v_mul_f32_e32 v25, v27, v121
	v_mul_f32_e32 v27, v27, v120
	v_fmac_f32_e32 v25, v26, v120
	v_fma_f32 v26, v26, v121, -v27
	v_mul_f32_e32 v27, v21, v123
	v_mul_f32_e32 v21, v21, v122
	v_fmac_f32_e32 v27, v20, v122
	v_fma_f32 v114, v20, v123, -v21
	s_waitcnt lgkmcnt(1)
	v_mul_f32_e32 v115, v23, v117
	v_mul_f32_e32 v20, v23, v116
	v_fmac_f32_e32 v115, v22, v116
	v_fma_f32 v22, v22, v117, -v20
	v_mul_f32_e32 v23, v37, v119
	v_mul_f32_e32 v20, v37, v118
	v_fmac_f32_e32 v23, v36, v118
	v_fma_f32 v36, v36, v119, -v20
	s_waitcnt lgkmcnt(0)
	v_mul_f32_e32 v37, v39, v105
	v_mul_f32_e32 v20, v39, v104
	v_add_f32_e32 v21, v113, v32
	v_fmac_f32_e32 v37, v38, v104
	v_fma_f32 v38, v38, v105, -v20
	v_add_f32_e32 v20, v112, v93
	v_add_f32_e32 v21, v21, v34
	;; [unrolled: 1-line block ×17, first 2 shown]
	v_sub_f32_e32 v32, v32, v38
	v_add_f32_e32 v20, v20, v23
	v_add_f32_e32 v21, v21, v38
	v_mul_f32_e32 v38, 0xbf0a6770, v32
	v_mul_f32_e32 v117, 0xbf68dda4, v32
	;; [unrolled: 1-line block ×5, first 2 shown]
	v_add_f32_e32 v20, v20, v37
	v_add_f32_e32 v39, v93, v37
	v_sub_f32_e32 v37, v93, v37
	s_mov_b32 s2, 0x3f575c64
	v_mov_b32_e32 v93, v38
	v_mul_f32_e32 v105, 0x3f575c64, v104
	s_mov_b32 s3, 0x3ed4b147
	v_mov_b32_e32 v118, v117
	v_mul_f32_e32 v119, 0x3ed4b147, v104
	;; [unrolled: 3-line block ×5, first 2 shown]
	v_fmac_f32_e32 v93, 0x3f575c64, v39
	v_mov_b32_e32 v116, v105
	v_fma_f32 v38, v39, s2, -v38
	v_fmac_f32_e32 v118, 0x3ed4b147, v39
	v_mov_b32_e32 v120, v119
	v_fma_f32 v117, v39, s3, -v117
	;; [unrolled: 3-line block ×5, first 2 shown]
	v_fmac_f32_e32 v104, 0xbe903f40, v37
	v_add_f32_e32 v39, v33, v23
	v_sub_f32_e32 v23, v33, v23
	v_sub_f32_e32 v33, v34, v36
	v_fmac_f32_e32 v116, 0x3f0a6770, v37
	v_fmac_f32_e32 v105, 0xbf0a6770, v37
	;; [unrolled: 1-line block ×9, first 2 shown]
	v_add_f32_e32 v37, v113, v104
	v_add_f32_e32 v104, v34, v36
	v_mul_f32_e32 v34, 0xbf68dda4, v33
	v_mov_b32_e32 v36, v34
	v_add_f32_e32 v93, v112, v93
	v_fmac_f32_e32 v36, 0x3ed4b147, v39
	v_add_f32_e32 v36, v36, v93
	v_mul_f32_e32 v93, 0x3ed4b147, v104
	v_add_f32_e32 v38, v112, v38
	v_add_f32_e32 v105, v113, v105
	v_add_f32_e32 v118, v112, v118
	v_add_f32_e32 v117, v112, v117
	v_add_f32_e32 v122, v112, v122
	v_add_f32_e32 v121, v112, v121
	v_add_f32_e32 v126, v112, v126
	v_add_f32_e32 v125, v112, v125
	v_add_f32_e32 v129, v112, v129
	v_add_f32_e32 v32, v112, v32
	v_mov_b32_e32 v112, v93
	v_fma_f32 v34, v39, s3, -v34
	v_fmac_f32_e32 v93, 0xbf68dda4, v23
	v_add_f32_e32 v34, v34, v38
	v_add_f32_e32 v38, v93, v105
	v_mul_f32_e32 v93, 0xbf4178ce, v33
	v_mov_b32_e32 v105, v93
	v_fma_f32 v93, v39, s9, -v93
	v_add_f32_e32 v116, v113, v116
	v_add_f32_e32 v120, v113, v120
	;; [unrolled: 1-line block ×8, first 2 shown]
	v_fmac_f32_e32 v112, 0x3f68dda4, v23
	v_fmac_f32_e32 v105, 0xbf27a4f4, v39
	v_mul_f32_e32 v113, 0xbf27a4f4, v104
	v_add_f32_e32 v93, v93, v117
	v_mul_f32_e32 v117, 0x3e903f40, v33
	v_add_f32_e32 v112, v112, v116
	v_add_f32_e32 v105, v105, v118
	v_mov_b32_e32 v116, v113
	v_fmac_f32_e32 v113, 0xbf4178ce, v23
	v_mov_b32_e32 v118, v117
	v_fma_f32 v117, v39, s10, -v117
	v_fmac_f32_e32 v116, 0x3f4178ce, v23
	v_add_f32_e32 v113, v113, v119
	v_fmac_f32_e32 v118, 0xbf75a155, v39
	v_mul_f32_e32 v119, 0xbf75a155, v104
	v_add_f32_e32 v117, v117, v121
	v_mul_f32_e32 v121, 0x3f7d64f0, v33
	v_add_f32_e32 v116, v116, v120
	v_add_f32_e32 v118, v118, v122
	v_mov_b32_e32 v120, v119
	v_fmac_f32_e32 v119, 0x3e903f40, v23
	v_mov_b32_e32 v122, v121
	v_fmac_f32_e32 v120, 0xbe903f40, v23
	v_add_f32_e32 v119, v119, v123
	v_fmac_f32_e32 v122, 0xbe11bafb, v39
	v_mul_f32_e32 v123, 0xbe11bafb, v104
	v_mul_f32_e32 v104, 0x3f575c64, v104
	v_add_f32_e32 v120, v120, v124
	v_add_f32_e32 v122, v122, v126
	v_mov_b32_e32 v124, v123
	v_mov_b32_e32 v126, v104
	v_fmac_f32_e32 v104, 0x3f0a6770, v23
	v_fmac_f32_e32 v124, 0xbf7d64f0, v23
	v_fma_f32 v121, v39, s8, -v121
	v_fmac_f32_e32 v123, 0x3f7d64f0, v23
	v_mul_f32_e32 v33, 0x3f0a6770, v33
	v_fmac_f32_e32 v126, 0xbf0a6770, v23
	v_add_f32_e32 v23, v104, v37
	v_add_f32_e32 v37, v28, v22
	v_sub_f32_e32 v22, v28, v22
	v_add_f32_e32 v121, v121, v125
	v_mov_b32_e32 v125, v33
	v_fma_f32 v33, v39, s2, -v33
	v_mul_f32_e32 v28, 0xbf7d64f0, v22
	v_fmac_f32_e32 v125, 0x3f575c64, v39
	v_add_f32_e32 v32, v33, v32
	v_add_f32_e32 v33, v35, v115
	v_mov_b32_e32 v39, v28
	v_fmac_f32_e32 v39, 0xbe11bafb, v33
	v_sub_f32_e32 v35, v35, v115
	v_add_f32_e32 v36, v39, v36
	v_mul_f32_e32 v39, 0xbe11bafb, v37
	v_mov_b32_e32 v104, v39
	v_fma_f32 v28, v33, s8, -v28
	v_fmac_f32_e32 v39, 0xbf7d64f0, v35
	v_add_f32_e32 v28, v28, v34
	v_add_f32_e32 v34, v39, v38
	v_mul_f32_e32 v38, 0x3e903f40, v22
	v_mov_b32_e32 v39, v38
	v_fmac_f32_e32 v39, 0xbf75a155, v33
	v_fmac_f32_e32 v104, 0x3f7d64f0, v35
	v_add_f32_e32 v39, v39, v105
	v_mul_f32_e32 v105, 0xbf75a155, v37
	v_add_f32_e32 v104, v104, v112
	v_mov_b32_e32 v112, v105
	v_fma_f32 v38, v33, s10, -v38
	v_fmac_f32_e32 v105, 0x3e903f40, v35
	v_add_f32_e32 v38, v38, v93
	v_add_f32_e32 v93, v105, v113
	v_mul_f32_e32 v105, 0x3f68dda4, v22
	v_mov_b32_e32 v113, v105
	v_fma_f32 v105, v33, s3, -v105
	v_fmac_f32_e32 v113, 0x3ed4b147, v33
	v_add_f32_e32 v105, v105, v117
	v_mul_f32_e32 v117, 0xbf0a6770, v22
	v_fmac_f32_e32 v112, 0xbe903f40, v35
	v_add_f32_e32 v113, v113, v118
	v_mul_f32_e32 v115, 0x3ed4b147, v37
	v_mov_b32_e32 v118, v117
	v_fma_f32 v117, v33, s2, -v117
	v_mul_f32_e32 v22, 0xbf4178ce, v22
	v_add_f32_e32 v112, v112, v116
	v_mov_b32_e32 v116, v115
	v_fmac_f32_e32 v115, 0x3f68dda4, v35
	v_add_f32_e32 v117, v117, v121
	v_mov_b32_e32 v121, v22
	v_fma_f32 v22, v33, s9, -v22
	v_fmac_f32_e32 v116, 0xbf68dda4, v35
	v_add_f32_e32 v115, v115, v119
	v_fmac_f32_e32 v118, 0x3f575c64, v33
	v_mul_f32_e32 v119, 0x3f575c64, v37
	v_mul_f32_e32 v37, 0xbf27a4f4, v37
	v_add_f32_e32 v22, v22, v32
	v_add_f32_e32 v32, v29, v27
	v_sub_f32_e32 v27, v29, v27
	v_sub_f32_e32 v29, v30, v114
	v_add_f32_e32 v116, v116, v120
	v_add_f32_e32 v118, v118, v122
	v_mov_b32_e32 v120, v119
	v_fmac_f32_e32 v121, 0xbf27a4f4, v33
	v_mov_b32_e32 v122, v37
	v_add_f32_e32 v33, v30, v114
	v_mul_f32_e32 v30, 0xbf4178ce, v29
	v_fmac_f32_e32 v120, 0x3f0a6770, v35
	v_fmac_f32_e32 v119, 0xbf0a6770, v35
	;; [unrolled: 1-line block ×4, first 2 shown]
	v_mov_b32_e32 v35, v30
	v_fmac_f32_e32 v35, 0xbf27a4f4, v32
	v_add_f32_e32 v35, v35, v36
	v_mul_f32_e32 v36, 0xbf27a4f4, v33
	v_add_f32_e32 v23, v37, v23
	v_mov_b32_e32 v37, v36
	v_fma_f32 v30, v32, s9, -v30
	v_fmac_f32_e32 v36, 0xbf4178ce, v27
	v_add_f32_e32 v28, v30, v28
	v_add_f32_e32 v30, v36, v34
	v_mul_f32_e32 v34, 0x3f7d64f0, v29
	v_mov_b32_e32 v36, v34
	v_fmac_f32_e32 v36, 0xbe11bafb, v32
	v_fmac_f32_e32 v37, 0x3f4178ce, v27
	v_add_f32_e32 v36, v36, v39
	v_mul_f32_e32 v39, 0xbe11bafb, v33
	v_add_f32_e32 v37, v37, v104
	v_mov_b32_e32 v104, v39
	v_fma_f32 v34, v32, s8, -v34
	v_fmac_f32_e32 v39, 0x3f7d64f0, v27
	v_add_f32_e32 v34, v34, v38
	v_add_f32_e32 v38, v39, v93
	v_mul_f32_e32 v39, 0xbf0a6770, v29
	v_fmac_f32_e32 v104, 0xbf7d64f0, v27
	v_mov_b32_e32 v93, v39
	v_add_f32_e32 v104, v104, v112
	v_fmac_f32_e32 v93, 0x3f575c64, v32
	v_mul_f32_e32 v112, 0x3f575c64, v33
	v_add_f32_e32 v93, v93, v113
	v_mov_b32_e32 v113, v112
	v_fma_f32 v39, v32, s2, -v39
	v_fmac_f32_e32 v112, 0xbf0a6770, v27
	v_add_f32_e32 v39, v39, v105
	v_add_f32_e32 v105, v112, v115
	v_mul_f32_e32 v112, 0xbe903f40, v29
	v_mov_b32_e32 v114, v112
	v_fmac_f32_e32 v114, 0xbf75a155, v32
	v_mul_f32_e32 v115, 0xbf75a155, v33
	v_fma_f32 v112, v32, s10, -v112
	v_mul_f32_e32 v29, 0x3f68dda4, v29
	v_mul_f32_e32 v33, 0x3ed4b147, v33
	v_add_f32_e32 v124, v124, v128
	v_add_f32_e32 v125, v125, v129
	;; [unrolled: 1-line block ×5, first 2 shown]
	v_mov_b32_e32 v117, v29
	v_mov_b32_e32 v118, v33
	v_add_f32_e32 v123, v123, v127
	v_add_f32_e32 v120, v120, v124
	;; [unrolled: 1-line block ×4, first 2 shown]
	v_fmac_f32_e32 v113, 0x3f0a6770, v27
	v_fmac_f32_e32 v117, 0x3ed4b147, v32
	;; [unrolled: 1-line block ×3, first 2 shown]
	v_sub_f32_e32 v124, v24, v26
	v_add_f32_e32 v119, v119, v123
	v_add_f32_e32 v113, v113, v116
	v_mov_b32_e32 v116, v115
	v_fmac_f32_e32 v115, 0xbe903f40, v27
	v_add_f32_e32 v117, v117, v121
	v_add_f32_e32 v118, v118, v122
	v_fma_f32 v29, v32, s3, -v29
	v_add_f32_e32 v121, v31, v25
	v_add_f32_e32 v122, v24, v26
	v_mul_f32_e32 v24, 0xbe903f40, v124
	v_fmac_f32_e32 v116, 0x3e903f40, v27
	v_add_f32_e32 v115, v115, v119
	v_add_f32_e32 v119, v29, v22
	v_fmac_f32_e32 v33, 0x3f68dda4, v27
	v_sub_f32_e32 v123, v31, v25
	v_mov_b32_e32 v22, v24
	v_mul_f32_e32 v25, 0xbf75a155, v122
	v_fma_f32 v24, v121, s10, -v24
	v_add_f32_e32 v116, v116, v120
	v_add_f32_e32 v120, v33, v23
	v_mov_b32_e32 v23, v25
	v_add_f32_e32 v24, v24, v28
	v_fmac_f32_e32 v25, 0xbe903f40, v123
	v_mul_f32_e32 v28, 0x3f0a6770, v124
	v_mul_f32_e32 v32, 0xbf4178ce, v124
	v_add_f32_e32 v25, v25, v30
	v_mov_b32_e32 v26, v28
	v_mov_b32_e32 v30, v32
	v_mul_f32_e32 v33, 0xbf27a4f4, v122
	v_fmac_f32_e32 v23, 0x3e903f40, v123
	v_fmac_f32_e32 v26, 0x3f575c64, v121
	v_mul_f32_e32 v29, 0x3f575c64, v122
	v_fmac_f32_e32 v30, 0xbf27a4f4, v121
	v_mov_b32_e32 v31, v33
	v_fmac_f32_e32 v33, 0xbf4178ce, v123
	v_fmac_f32_e32 v22, 0xbf75a155, v121
	v_add_f32_e32 v23, v23, v37
	v_add_f32_e32 v26, v26, v36
	v_mov_b32_e32 v27, v29
	v_fma_f32 v28, v121, s2, -v28
	v_fmac_f32_e32 v29, 0x3f0a6770, v123
	v_add_f32_e32 v30, v30, v93
	v_fma_f32 v32, v121, s9, -v32
	v_add_f32_e32 v33, v33, v105
	v_mul_f32_e32 v36, 0x3f68dda4, v124
	v_mul_f32_e32 v37, 0x3ed4b147, v122
	;; [unrolled: 1-line block ×4, first 2 shown]
	v_add_f32_e32 v22, v22, v35
	v_add_f32_e32 v28, v28, v34
	;; [unrolled: 1-line block ×4, first 2 shown]
	v_mov_b32_e32 v34, v36
	v_mov_b32_e32 v35, v37
	;; [unrolled: 1-line block ×4, first 2 shown]
	v_add_u32_e32 v92, 0x268, v164
	v_fmac_f32_e32 v27, 0xbf0a6770, v123
	v_fmac_f32_e32 v31, 0x3f4178ce, v123
	;; [unrolled: 1-line block ×4, first 2 shown]
	v_fma_f32 v36, v121, s3, -v36
	v_fmac_f32_e32 v37, 0x3f68dda4, v123
	v_fmac_f32_e32 v38, 0xbe11bafb, v121
	;; [unrolled: 1-line block ×3, first 2 shown]
	v_fma_f32 v93, v121, s8, -v93
	v_fmac_f32_e32 v105, 0xbf7d64f0, v123
	v_add_f32_e32 v27, v27, v104
	v_add_f32_e32 v31, v31, v113
	;; [unrolled: 1-line block ×10, first 2 shown]
	s_barrier
	ds_write2_b64 v168, v[20:21], v[22:23] offset1:2
	ds_write2_b64 v168, v[26:27], v[30:31] offset0:4 offset1:6
	ds_write2_b64 v168, v[34:35], v[38:39] offset0:8 offset1:10
	;; [unrolled: 1-line block ×4, first 2 shown]
	ds_write_b64 v168, v[24:25] offset:160
	s_and_saveexec_b64 s[0:1], vcc
	s_cbranch_execz .LBB0_9
; %bb.8:
	v_mul_f32_e32 v20, v19, v161
	v_mul_f32_e32 v21, v13, v108
	;; [unrolled: 1-line block ×3, first 2 shown]
	v_fma_f32 v20, v18, v162, -v20
	v_fma_f32 v21, v12, v109, -v21
	v_fmac_f32_e32 v13, v12, v108
	v_mul_f32_e32 v12, v19, v162
	v_mul_f32_e32 v19, v17, v90
	;; [unrolled: 1-line block ×3, first 2 shown]
	v_add_f32_e32 v22, v20, v21
	v_fma_f32 v19, v16, v91, -v19
	v_fma_f32 v25, v14, v111, -v25
	v_mul_f32_e32 v15, v15, v111
	v_mul_f32_e32 v23, 0xbf75a155, v22
	v_fmac_f32_e32 v12, v18, v161
	v_add_f32_e32 v26, v19, v25
	v_fmac_f32_e32 v15, v14, v110
	v_mul_f32_e32 v14, v17, v91
	v_sub_f32_e32 v24, v13, v12
	v_mov_b32_e32 v18, v23
	v_mul_f32_e32 v27, 0x3f575c64, v26
	v_fmac_f32_e32 v14, v16, v90
	v_fmac_f32_e32 v18, 0x3e903f40, v24
	v_sub_f32_e32 v28, v15, v14
	v_mov_b32_e32 v16, v27
	v_add_f32_e32 v18, v107, v18
	v_fmac_f32_e32 v16, 0xbf0a6770, v28
	v_add_f32_e32 v16, v16, v18
	v_mul_f32_e32 v17, v7, v88
	v_mul_f32_e32 v18, v9, v94
	v_fma_f32 v17, v6, v89, -v17
	v_fma_f32 v18, v8, v95, -v18
	v_add_f32_e32 v29, v17, v18
	v_mul_f32_e32 v31, v9, v95
	v_mul_f32_e32 v32, v7, v89
	;; [unrolled: 1-line block ×3, first 2 shown]
	v_fmac_f32_e32 v31, v8, v94
	v_fmac_f32_e32 v32, v6, v88
	v_sub_f32_e32 v33, v31, v32
	v_mov_b32_e32 v6, v30
	v_fmac_f32_e32 v6, 0x3f4178ce, v33
	v_mul_f32_e32 v7, v5, v102
	v_add_f32_e32 v6, v6, v16
	v_fma_f32 v16, v4, v103, -v7
	v_mul_f32_e32 v7, v11, v96
	v_mul_f32_e32 v36, v11, v97
	v_fma_f32 v34, v10, v97, -v7
	v_fmac_f32_e32 v36, v10, v96
	v_mul_f32_e32 v10, v5, v103
	v_mul_f32_e32 v5, v3, v100
	v_fma_f32 v11, v2, v101, -v5
	v_mul_f32_e32 v5, v1, v98
	v_add_f32_e32 v8, v16, v34
	v_fma_f32 v38, v0, v99, -v5
	v_mul_f32_e32 v35, 0x3ed4b147, v8
	v_fmac_f32_e32 v10, v4, v102
	v_add_f32_e32 v9, v11, v38
	v_mul_f32_e32 v88, v1, v99
	v_mul_f32_e32 v89, v3, v101
	v_sub_f32_e32 v37, v36, v10
	v_mov_b32_e32 v4, v35
	v_mul_f32_e32 v39, 0xbe11bafb, v9
	v_fmac_f32_e32 v88, v0, v98
	v_fmac_f32_e32 v89, v2, v100
	;; [unrolled: 1-line block ×3, first 2 shown]
	v_sub_f32_e32 v90, v88, v89
	v_mov_b32_e32 v0, v39
	v_sub_f32_e32 v93, v21, v20
	v_add_f32_e32 v4, v4, v6
	v_fmac_f32_e32 v0, 0x3f7d64f0, v90
	v_mul_f32_e32 v94, 0xbe903f40, v93
	v_sub_f32_e32 v96, v25, v19
	v_add_f32_e32 v1, v0, v4
	v_add_f32_e32 v91, v12, v13
	v_mov_b32_e32 v0, v94
	v_mul_f32_e32 v97, 0x3f0a6770, v96
	v_fmac_f32_e32 v0, 0xbf75a155, v91
	v_add_f32_e32 v95, v14, v15
	v_mov_b32_e32 v2, v97
	v_sub_f32_e32 v99, v18, v17
	v_add_f32_e32 v0, v106, v0
	v_fmac_f32_e32 v2, 0x3f575c64, v95
	v_mul_f32_e32 v100, 0xbf4178ce, v99
	v_add_f32_e32 v0, v2, v0
	v_add_f32_e32 v98, v32, v31
	v_mov_b32_e32 v2, v100
	v_sub_f32_e32 v102, v34, v16
	v_fmac_f32_e32 v2, 0xbf27a4f4, v98
	v_mul_f32_e32 v103, 0x3f68dda4, v102
	v_add_f32_e32 v0, v2, v0
	v_add_f32_e32 v101, v10, v36
	v_mov_b32_e32 v2, v103
	v_sub_f32_e32 v105, v38, v11
	v_fmac_f32_e32 v2, 0x3ed4b147, v101
	v_mul_f32_e32 v108, 0xbf7d64f0, v105
	v_add_f32_e32 v0, v2, v0
	v_add_f32_e32 v104, v89, v88
	v_mov_b32_e32 v2, v108
	v_fmac_f32_e32 v2, 0xbe11bafb, v104
	v_mul_f32_e32 v109, 0xbf27a4f4, v22
	v_add_f32_e32 v0, v2, v0
	v_mov_b32_e32 v2, v109
	v_mul_f32_e32 v110, 0xbe11bafb, v26
	v_fmac_f32_e32 v2, 0x3f4178ce, v24
	v_mov_b32_e32 v3, v110
	v_add_f32_e32 v2, v107, v2
	v_fmac_f32_e32 v3, 0xbf7d64f0, v28
	v_mul_f32_e32 v111, 0x3f575c64, v29
	v_add_f32_e32 v2, v3, v2
	v_mov_b32_e32 v3, v111
	v_fmac_f32_e32 v3, 0x3f0a6770, v33
	v_mul_f32_e32 v112, 0xbf75a155, v8
	v_add_f32_e32 v2, v3, v2
	v_mov_b32_e32 v3, v112
	;; [unrolled: 4-line block ×4, first 2 shown]
	v_mul_f32_e32 v115, 0x3f7d64f0, v96
	v_fmac_f32_e32 v2, 0xbf27a4f4, v91
	v_mov_b32_e32 v4, v115
	v_add_f32_e32 v2, v106, v2
	v_fmac_f32_e32 v4, 0xbe11bafb, v95
	v_mul_f32_e32 v116, 0xbf0a6770, v99
	v_add_f32_e32 v2, v4, v2
	v_mov_b32_e32 v4, v116
	v_fmac_f32_e32 v4, 0x3f575c64, v98
	v_mul_f32_e32 v117, 0xbe903f40, v102
	v_add_f32_e32 v2, v4, v2
	v_mov_b32_e32 v4, v117
	;; [unrolled: 4-line block ×4, first 2 shown]
	v_mul_f32_e32 v120, 0xbf75a155, v26
	v_fmac_f32_e32 v4, 0x3f7d64f0, v24
	v_mov_b32_e32 v5, v120
	v_add_f32_e32 v4, v107, v4
	v_fmac_f32_e32 v5, 0xbe903f40, v28
	v_mul_f32_e32 v121, 0x3ed4b147, v29
	v_add_f32_e32 v4, v5, v4
	v_mov_b32_e32 v5, v121
	v_add_f32_e32 v13, v106, v13
	v_fmac_f32_e32 v5, 0xbf68dda4, v33
	v_mul_f32_e32 v122, 0x3f575c64, v8
	v_add_f32_e32 v13, v15, v13
	v_add_f32_e32 v4, v5, v4
	v_mov_b32_e32 v5, v122
	v_add_f32_e32 v13, v31, v13
	v_fmac_f32_e32 v5, 0x3f0a6770, v37
	v_mul_f32_e32 v123, 0xbf27a4f4, v9
	v_add_f32_e32 v13, v36, v13
	;; [unrolled: 6-line block ×3, first 2 shown]
	v_add_f32_e32 v5, v5, v4
	v_mov_b32_e32 v4, v124
	v_mul_f32_e32 v125, 0x3e903f40, v96
	v_add_f32_e32 v10, v10, v13
	v_fmac_f32_e32 v4, 0xbe11bafb, v91
	v_mov_b32_e32 v6, v125
	v_add_f32_e32 v10, v32, v10
	v_add_f32_e32 v4, v106, v4
	v_fmac_f32_e32 v6, 0xbf75a155, v95
	v_mul_f32_e32 v126, 0x3f68dda4, v99
	v_add_f32_e32 v10, v14, v10
	v_fmac_f32_e32 v23, 0xbe903f40, v24
	v_add_f32_e32 v4, v6, v4
	v_mov_b32_e32 v6, v126
	v_add_f32_e32 v10, v12, v10
	v_add_f32_e32 v12, v107, v23
	v_fmac_f32_e32 v27, 0x3f0a6770, v28
	v_fmac_f32_e32 v6, 0x3ed4b147, v98
	v_mul_f32_e32 v127, 0xbf0a6770, v102
	v_add_f32_e32 v12, v27, v12
	v_fmac_f32_e32 v30, 0xbf4178ce, v33
	v_add_f32_e32 v4, v6, v4
	v_mov_b32_e32 v6, v127
	v_add_f32_e32 v12, v30, v12
	v_fmac_f32_e32 v35, 0x3f68dda4, v37
	v_fmac_f32_e32 v6, 0x3f575c64, v101
	v_mul_f32_e32 v128, 0xbf4178ce, v105
	v_add_f32_e32 v12, v35, v12
	v_fmac_f32_e32 v39, 0xbf7d64f0, v90
	v_add_f32_e32 v4, v6, v4
	v_mov_b32_e32 v6, v128
	v_add_f32_e32 v13, v39, v12
	v_fma_f32 v12, v91, s10, -v94
	v_fmac_f32_e32 v6, 0xbf27a4f4, v104
	v_mul_f32_e32 v129, 0x3ed4b147, v22
	v_add_f32_e32 v12, v106, v12
	v_fma_f32 v14, v95, s2, -v97
	v_add_f32_e32 v4, v6, v4
	v_mov_b32_e32 v6, v129
	v_mul_f32_e32 v130, 0xbf27a4f4, v26
	v_add_f32_e32 v12, v14, v12
	v_fma_f32 v14, v98, s9, -v100
	v_fmac_f32_e32 v6, 0x3f68dda4, v24
	v_mov_b32_e32 v7, v130
	v_add_f32_e32 v12, v14, v12
	v_fma_f32 v14, v101, s3, -v103
	v_add_f32_e32 v6, v107, v6
	v_fmac_f32_e32 v7, 0x3f4178ce, v28
	v_mul_f32_e32 v131, 0xbf75a155, v29
	v_add_f32_e32 v21, v21, v107
	v_add_f32_e32 v12, v14, v12
	v_fma_f32 v14, v104, s8, -v108
	v_fmac_f32_e32 v109, 0xbf4178ce, v24
	v_add_f32_e32 v6, v7, v6
	v_mov_b32_e32 v7, v131
	v_add_f32_e32 v21, v25, v21
	v_add_f32_e32 v12, v14, v12
	;; [unrolled: 1-line block ×3, first 2 shown]
	v_fmac_f32_e32 v110, 0x3f7d64f0, v28
	v_fmac_f32_e32 v7, 0xbe903f40, v33
	v_mul_f32_e32 v161, 0xbe11bafb, v8
	v_add_f32_e32 v18, v18, v21
	v_add_f32_e32 v14, v110, v14
	v_fmac_f32_e32 v111, 0xbf0a6770, v33
	v_add_f32_e32 v6, v7, v6
	v_mov_b32_e32 v7, v161
	v_add_f32_e32 v18, v34, v18
	v_add_f32_e32 v14, v111, v14
	v_fmac_f32_e32 v112, 0xbe903f40, v37
	v_fmac_f32_e32 v7, 0xbf7d64f0, v37
	v_mul_f32_e32 v162, 0x3f575c64, v9
	v_add_f32_e32 v18, v38, v18
	v_add_f32_e32 v14, v112, v14
	v_fmac_f32_e32 v113, 0x3f68dda4, v90
	v_add_f32_e32 v6, v7, v6
	v_mov_b32_e32 v7, v162
	v_add_f32_e32 v11, v11, v18
	v_add_f32_e32 v15, v113, v14
	v_fma_f32 v14, v91, s9, -v114
	v_fmac_f32_e32 v7, 0xbf0a6770, v90
	v_mul_f32_e32 v168, 0xbf68dda4, v93
	v_add_f32_e32 v11, v16, v11
	v_add_f32_e32 v14, v106, v14
	v_fma_f32 v16, v95, s8, -v115
	v_add_f32_e32 v7, v7, v6
	v_mov_b32_e32 v6, v168
	v_mul_f32_e32 v172, 0xbf4178ce, v96
	v_add_f32_e32 v14, v16, v14
	v_fma_f32 v16, v98, s2, -v116
	v_fmac_f32_e32 v6, 0x3ed4b147, v91
	v_mov_b32_e32 v173, v172
	v_add_f32_e32 v14, v16, v14
	v_fma_f32 v16, v101, s10, -v117
	v_add_f32_e32 v6, v106, v6
	v_fmac_f32_e32 v173, 0xbf27a4f4, v95
	v_add_f32_e32 v14, v16, v14
	v_fma_f32 v16, v104, s3, -v118
	v_fmac_f32_e32 v119, 0xbf7d64f0, v24
	v_add_f32_e32 v6, v173, v6
	v_mul_f32_e32 v173, 0x3e903f40, v99
	v_add_f32_e32 v14, v16, v14
	v_add_f32_e32 v16, v107, v119
	v_fmac_f32_e32 v120, 0x3e903f40, v28
	v_mov_b32_e32 v174, v173
	v_add_f32_e32 v16, v120, v16
	v_fmac_f32_e32 v121, 0x3f68dda4, v33
	v_fmac_f32_e32 v174, 0xbf75a155, v98
	v_add_f32_e32 v16, v121, v16
	v_fmac_f32_e32 v122, 0xbf0a6770, v37
	v_add_f32_e32 v6, v174, v6
	v_mul_f32_e32 v174, 0x3f7d64f0, v102
	v_add_f32_e32 v16, v122, v16
	v_fmac_f32_e32 v123, 0xbf4178ce, v90
	v_mov_b32_e32 v175, v174
	v_add_f32_e32 v11, v17, v11
	v_add_f32_e32 v17, v123, v16
	v_fma_f32 v16, v91, s8, -v124
	v_fmac_f32_e32 v175, 0xbe11bafb, v101
	v_add_f32_e32 v16, v106, v16
	v_fma_f32 v18, v95, s10, -v125
	v_add_f32_e32 v6, v175, v6
	v_mul_f32_e32 v175, 0x3f0a6770, v105
	v_add_f32_e32 v16, v18, v16
	v_fma_f32 v18, v98, s3, -v126
	v_mov_b32_e32 v176, v175
	v_add_f32_e32 v16, v18, v16
	v_fma_f32 v18, v101, s2, -v127
	v_fmac_f32_e32 v176, 0x3f575c64, v104
	v_mul_f32_e32 v22, 0x3f575c64, v22
	v_add_f32_e32 v16, v18, v16
	v_fma_f32 v18, v104, s9, -v128
	v_fmac_f32_e32 v129, 0xbf68dda4, v24
	v_add_f32_e32 v6, v176, v6
	v_mov_b32_e32 v176, v22
	v_mul_f32_e32 v26, 0x3ed4b147, v26
	v_add_f32_e32 v16, v18, v16
	v_add_f32_e32 v18, v107, v129
	v_fmac_f32_e32 v130, 0xbf4178ce, v28
	v_fmac_f32_e32 v176, 0x3f0a6770, v24
	v_mov_b32_e32 v177, v26
	v_add_f32_e32 v18, v130, v18
	v_fmac_f32_e32 v131, 0x3e903f40, v33
	v_add_f32_e32 v176, v107, v176
	v_fmac_f32_e32 v177, 0x3f68dda4, v28
	v_mul_f32_e32 v29, 0xbe11bafb, v29
	v_add_f32_e32 v18, v131, v18
	v_fmac_f32_e32 v161, 0x3f7d64f0, v37
	v_add_f32_e32 v176, v177, v176
	v_mov_b32_e32 v177, v29
	v_add_f32_e32 v18, v161, v18
	v_fmac_f32_e32 v162, 0x3f0a6770, v90
	v_fmac_f32_e32 v177, 0x3f7d64f0, v33
	v_add_f32_e32 v11, v19, v11
	v_add_f32_e32 v19, v162, v18
	v_fma_f32 v18, v91, s3, -v168
	v_add_f32_e32 v176, v177, v176
	v_mul_f32_e32 v177, 0xbf27a4f4, v8
	v_add_f32_e32 v11, v20, v11
	v_add_f32_e32 v18, v106, v18
	v_fma_f32 v20, v95, s9, -v172
	v_mov_b32_e32 v8, v177
	v_add_f32_e32 v18, v20, v18
	v_fma_f32 v20, v98, s10, -v173
	v_fmac_f32_e32 v8, 0x3f4178ce, v37
	v_add_f32_e32 v18, v20, v18
	v_fma_f32 v20, v101, s8, -v174
	v_add_f32_e32 v8, v8, v176
	v_mul_f32_e32 v176, 0xbf75a155, v9
	v_add_f32_e32 v18, v20, v18
	v_fma_f32 v20, v104, s2, -v175
	v_fmac_f32_e32 v22, 0xbf0a6770, v24
	v_mov_b32_e32 v9, v176
	v_add_f32_e32 v18, v20, v18
	v_add_f32_e32 v20, v107, v22
	v_fmac_f32_e32 v26, 0xbf68dda4, v28
	v_fmac_f32_e32 v9, 0x3e903f40, v90
	v_mul_f32_e32 v93, 0xbf0a6770, v93
	v_add_f32_e32 v20, v26, v20
	v_fmac_f32_e32 v29, 0xbf7d64f0, v33
	v_add_f32_e32 v9, v9, v8
	v_mov_b32_e32 v8, v93
	v_mul_f32_e32 v96, 0xbf68dda4, v96
	v_add_f32_e32 v20, v29, v20
	v_fmac_f32_e32 v177, 0xbf4178ce, v37
	v_fmac_f32_e32 v8, 0x3f575c64, v91
	v_mov_b32_e32 v178, v96
	v_add_f32_e32 v20, v177, v20
	v_fmac_f32_e32 v176, 0xbe903f40, v90
	v_add_f32_e32 v8, v106, v8
	v_fmac_f32_e32 v178, 0x3ed4b147, v95
	v_mul_f32_e32 v99, 0xbf7d64f0, v99
	v_add_f32_e32 v21, v176, v20
	v_fma_f32 v20, v91, s2, -v93
	v_add_f32_e32 v8, v178, v8
	v_mov_b32_e32 v178, v99
	v_add_f32_e32 v20, v106, v20
	v_fma_f32 v22, v95, s3, -v96
	v_fmac_f32_e32 v178, 0xbe11bafb, v98
	v_mul_f32_e32 v102, 0xbf4178ce, v102
	v_add_f32_e32 v20, v22, v20
	v_fma_f32 v22, v98, s8, -v99
	v_add_f32_e32 v8, v178, v8
	v_mov_b32_e32 v178, v102
	v_mul_f32_e32 v105, 0xbe903f40, v105
	v_add_f32_e32 v20, v22, v20
	v_fma_f32 v22, v101, s9, -v102
	v_fmac_f32_e32 v178, 0xbf27a4f4, v101
	v_add_f32_e32 v20, v22, v20
	v_fma_f32 v22, v104, s10, -v105
	v_add_f32_e32 v8, v178, v8
	v_mov_b32_e32 v178, v105
	v_add_f32_e32 v20, v22, v20
	v_mul_u32_u24_e32 v22, 22, v167
	v_fmac_f32_e32 v178, 0xbf75a155, v104
	v_or_b32_e32 v22, v22, v166
	v_add_f32_e32 v8, v178, v8
	v_lshl_add_u32 v22, v22, 3, v165
	ds_write2_b64 v22, v[10:11], v[8:9] offset1:2
	ds_write2_b64 v22, v[6:7], v[4:5] offset0:4 offset1:6
	ds_write2_b64 v22, v[2:3], v[0:1] offset0:8 offset1:10
	;; [unrolled: 1-line block ×4, first 2 shown]
	ds_write_b64 v22, v[20:21] offset:160
.LBB0_9:
	s_or_b64 exec, exec, s[0:1]
	s_waitcnt lgkmcnt(0)
	s_barrier
	ds_read2_b64 v[6:9], v164 offset1:77
	ds_read2_b64 v[10:13], v164 offset0:154 offset1:231
	v_add_u32_e32 v3, 0x800, v164
	ds_read2_b64 v[14:17], v3 offset0:52 offset1:129
	v_add_u32_e32 v5, 0xc00, v164
	;; [unrolled: 2-line block ×3, first 2 shown]
	s_waitcnt lgkmcnt(2)
	v_mul_f32_e32 v34, v49, v11
	ds_read2_b64 v[22:25], v4 offset0:104 offset1:181
	v_fmac_f32_e32 v34, v48, v10
	v_mul_f32_e32 v10, v49, v10
	v_fma_f32 v10, v48, v11, -v10
	s_waitcnt lgkmcnt(2)
	v_mul_f32_e32 v11, v51, v15
	v_add_u32_e32 v2, 0x1800, v164
	v_fmac_f32_e32 v11, v50, v14
	v_mul_f32_e32 v14, v51, v14
	ds_read2_b64 v[26:29], v2 offset0:2 offset1:79
	ds_read2_b64 v[30:33], v2 offset0:156 offset1:233
	v_fma_f32 v14, v50, v15, -v14
	s_waitcnt lgkmcnt(3)
	v_mul_f32_e32 v15, v41, v19
	v_fmac_f32_e32 v15, v40, v18
	v_mul_f32_e32 v18, v41, v18
	v_fma_f32 v18, v40, v19, -v18
	s_waitcnt lgkmcnt(2)
	v_mul_f32_e32 v19, v43, v23
	v_fmac_f32_e32 v19, v42, v22
	v_mul_f32_e32 v22, v43, v22
	v_fma_f32 v22, v42, v23, -v22
	s_waitcnt lgkmcnt(1)
	v_mul_f32_e32 v23, v61, v27
	v_fmac_f32_e32 v23, v60, v26
	v_mul_f32_e32 v26, v61, v26
	v_fma_f32 v26, v60, v27, -v26
	s_waitcnt lgkmcnt(0)
	v_mul_f32_e32 v27, v63, v31
	v_fmac_f32_e32 v27, v62, v30
	v_mul_f32_e32 v30, v63, v30
	v_fma_f32 v30, v62, v31, -v30
	v_mul_f32_e32 v31, v57, v13
	v_fmac_f32_e32 v31, v56, v12
	v_mul_f32_e32 v12, v57, v12
	v_fma_f32 v35, v56, v13, -v12
	v_mul_f32_e32 v12, v59, v16
	v_fma_f32 v37, v58, v17, -v12
	;; [unrolled: 2-line block ×3, first 2 shown]
	v_mul_f32_e32 v40, v55, v25
	v_mul_f32_e32 v12, v55, v24
	v_fmac_f32_e32 v40, v54, v24
	v_fma_f32 v24, v54, v25, -v12
	v_mul_f32_e32 v25, v45, v29
	v_mul_f32_e32 v12, v45, v28
	v_fmac_f32_e32 v25, v44, v28
	v_fma_f32 v28, v44, v29, -v12
	v_mul_f32_e32 v29, v47, v33
	v_mul_f32_e32 v12, v47, v32
	;; [unrolled: 1-line block ×4, first 2 shown]
	v_fmac_f32_e32 v29, v46, v32
	v_fma_f32 v32, v46, v33, -v12
	v_add_f32_e32 v12, v34, v27
	v_add_f32_e32 v17, v11, v23
	v_fmac_f32_e32 v38, v52, v20
	v_add_f32_e32 v13, v10, v30
	v_add_f32_e32 v20, v14, v26
	;; [unrolled: 1-line block ×3, first 2 shown]
	v_sub_f32_e32 v15, v19, v15
	v_add_f32_e32 v19, v17, v12
	v_sub_f32_e32 v11, v11, v23
	v_add_f32_e32 v23, v18, v22
	;; [unrolled: 2-line block ×3, first 2 shown]
	v_add_f32_e32 v19, v21, v19
	v_sub_f32_e32 v14, v14, v26
	v_sub_f32_e32 v26, v17, v12
	;; [unrolled: 1-line block ×4, first 2 shown]
	v_add_f32_e32 v21, v23, v22
	v_add_f32_e32 v6, v6, v19
	v_mad_u64_u32 v[0:1], s[0:1], s6, v148, 0
	v_fmac_f32_e32 v36, v58, v16
	v_sub_f32_e32 v16, v34, v27
	v_sub_f32_e32 v10, v10, v30
	;; [unrolled: 1-line block ×5, first 2 shown]
	v_add_f32_e32 v30, v15, v11
	v_add_f32_e32 v33, v18, v14
	v_sub_f32_e32 v34, v15, v11
	v_sub_f32_e32 v41, v18, v14
	v_add_f32_e32 v7, v7, v21
	v_mov_b32_e32 v42, v6
	v_sub_f32_e32 v15, v16, v15
	v_sub_f32_e32 v18, v10, v18
	;; [unrolled: 1-line block ×4, first 2 shown]
	v_add_f32_e32 v16, v30, v16
	v_add_f32_e32 v10, v33, v10
	v_mul_f32_e32 v12, 0x3f4a47b2, v12
	v_mul_f32_e32 v13, 0x3f4a47b2, v13
	;; [unrolled: 1-line block ×6, first 2 shown]
	s_mov_b32 s0, 0xbf5ff5aa
	v_fmac_f32_e32 v42, 0xbf955555, v19
	v_mov_b32_e32 v19, v7
	s_mov_b32 s2, 0x3f3bfb3b
	s_mov_b32 s1, 0xbf3bfb3b
	v_mul_f32_e32 v34, 0xbf5ff5aa, v11
	v_mul_f32_e32 v41, 0xbf5ff5aa, v14
	v_fmac_f32_e32 v19, 0xbf955555, v21
	v_fma_f32 v21, v26, s2, -v22
	v_fma_f32 v22, v27, s2, -v23
	;; [unrolled: 1-line block ×3, first 2 shown]
	v_fmac_f32_e32 v12, 0x3d64c772, v17
	v_fma_f32 v17, v27, s1, -v13
	v_fmac_f32_e32 v13, 0x3d64c772, v20
	v_fma_f32 v20, v11, s0, -v30
	v_fma_f32 v26, v14, s0, -v33
	s_mov_b32 s3, 0x3eae86e6
	v_fmac_f32_e32 v30, 0xbeae86e6, v15
	v_fmac_f32_e32 v33, 0xbeae86e6, v18
	v_fma_f32 v27, v15, s3, -v34
	v_fma_f32 v18, v18, s3, -v41
	v_add_f32_e32 v21, v21, v42
	v_add_f32_e32 v22, v22, v19
	v_fmac_f32_e32 v20, 0xbee1c552, v16
	v_fmac_f32_e32 v26, 0xbee1c552, v10
	v_add_f32_e32 v34, v12, v42
	v_add_f32_e32 v41, v13, v19
	;; [unrolled: 1-line block ×4, first 2 shown]
	v_fmac_f32_e32 v30, 0xbee1c552, v16
	v_fmac_f32_e32 v33, 0xbee1c552, v10
	;; [unrolled: 1-line block ×4, first 2 shown]
	v_sub_f32_e32 v14, v21, v26
	v_add_f32_e32 v15, v20, v22
	v_add_f32_e32 v16, v26, v21
	v_sub_f32_e32 v17, v22, v20
	v_add_f32_e32 v22, v31, v29
	v_sub_f32_e32 v26, v31, v29
	v_add_f32_e32 v29, v36, v25
	v_add_f32_e32 v10, v33, v34
	v_sub_f32_e32 v11, v41, v30
	v_add_f32_e32 v12, v18, v23
	v_sub_f32_e32 v18, v23, v18
	v_sub_f32_e32 v20, v34, v33
	v_add_f32_e32 v21, v30, v41
	v_add_f32_e32 v23, v35, v32
	;; [unrolled: 1-line block ×5, first 2 shown]
	v_sub_f32_e32 v13, v19, v27
	v_add_f32_e32 v19, v27, v19
	v_sub_f32_e32 v27, v35, v32
	v_sub_f32_e32 v25, v36, v25
	v_add_f32_e32 v32, v39, v24
	v_add_f32_e32 v35, v30, v23
	v_sub_f32_e32 v36, v29, v22
	v_sub_f32_e32 v22, v22, v31
	;; [unrolled: 1-line block ×3, first 2 shown]
	v_add_f32_e32 v31, v31, v34
	v_sub_f32_e32 v28, v37, v28
	v_sub_f32_e32 v33, v40, v38
	;; [unrolled: 1-line block ×6, first 2 shown]
	v_add_f32_e32 v32, v32, v35
	v_add_f32_e32 v8, v8, v31
	v_add_f32_e32 v38, v33, v25
	v_add_f32_e32 v39, v24, v28
	v_sub_f32_e32 v40, v33, v25
	v_sub_f32_e32 v41, v24, v28
	;; [unrolled: 1-line block ×4, first 2 shown]
	v_add_f32_e32 v9, v9, v32
	v_mov_b32_e32 v42, v8
	v_sub_f32_e32 v33, v26, v33
	v_sub_f32_e32 v24, v27, v24
	v_add_f32_e32 v26, v38, v26
	v_add_f32_e32 v27, v39, v27
	v_mul_f32_e32 v22, 0x3f4a47b2, v22
	v_mul_f32_e32 v23, 0x3f4a47b2, v23
	;; [unrolled: 1-line block ×8, first 2 shown]
	v_fmac_f32_e32 v42, 0xbf955555, v31
	v_mov_b32_e32 v31, v9
	v_fmac_f32_e32 v31, 0xbf955555, v32
	v_fma_f32 v32, v36, s2, -v34
	v_fma_f32 v34, v37, s2, -v35
	;; [unrolled: 1-line block ×3, first 2 shown]
	v_fmac_f32_e32 v22, 0x3d64c772, v29
	v_fma_f32 v29, v37, s1, -v23
	v_fmac_f32_e32 v23, 0x3d64c772, v30
	v_fma_f32 v30, v25, s0, -v38
	;; [unrolled: 2-line block ×4, first 2 shown]
	v_fma_f32 v36, v24, s3, -v41
	v_add_f32_e32 v37, v22, v42
	v_add_f32_e32 v40, v23, v31
	;; [unrolled: 1-line block ×6, first 2 shown]
	v_fmac_f32_e32 v38, 0xbee1c552, v26
	v_fmac_f32_e32 v39, 0xbee1c552, v27
	;; [unrolled: 1-line block ×6, first 2 shown]
	v_add_f32_e32 v22, v39, v37
	v_sub_f32_e32 v23, v40, v38
	v_add_f32_e32 v24, v36, v35
	v_sub_f32_e32 v25, v31, v33
	v_sub_f32_e32 v26, v32, v28
	v_add_f32_e32 v27, v30, v34
	v_add_f32_e32 v28, v28, v32
	v_sub_f32_e32 v29, v34, v30
	v_sub_f32_e32 v30, v35, v36
	v_add_f32_e32 v31, v33, v31
	v_sub_f32_e32 v32, v37, v39
	v_add_f32_e32 v33, v38, v40
	s_barrier
	ds_write2_b64 v169, v[6:7], v[10:11] offset1:22
	ds_write2_b64 v169, v[12:13], v[14:15] offset0:44 offset1:66
	ds_write2_b64 v169, v[16:17], v[18:19] offset0:88 offset1:110
	ds_write_b64 v169, v[20:21] offset:1056
	ds_write2_b64 v170, v[8:9], v[22:23] offset1:22
	ds_write2_b64 v170, v[24:25], v[26:27] offset0:44 offset1:66
	ds_write2_b64 v170, v[28:29], v[30:31] offset0:88 offset1:110
	ds_write_b64 v170, v[32:33] offset:1056
	s_waitcnt lgkmcnt(0)
	s_barrier
	ds_read2_b64 v[6:9], v164 offset1:77
	ds_read2_b64 v[10:13], v164 offset0:154 offset1:231
	ds_read2_b64 v[14:17], v3 offset0:52 offset1:129
	ds_read2_b64 v[18:21], v5 offset0:78 offset1:155
	ds_read2_b64 v[22:25], v4 offset0:104 offset1:181
	ds_read2_b64 v[26:29], v2 offset0:2 offset1:79
	ds_read2_b64 v[30:33], v2 offset0:156 offset1:233
	s_waitcnt lgkmcnt(5)
	v_mul_f32_e32 v34, v77, v11
	v_fmac_f32_e32 v34, v76, v10
	v_mul_f32_e32 v10, v77, v10
	v_fma_f32 v10, v76, v11, -v10
	s_waitcnt lgkmcnt(4)
	v_mul_f32_e32 v11, v79, v15
	v_fmac_f32_e32 v11, v78, v14
	v_mul_f32_e32 v14, v79, v14
	v_fma_f32 v14, v78, v15, -v14
	;; [unrolled: 5-line block ×6, first 2 shown]
	v_mul_f32_e32 v31, v85, v13
	v_fmac_f32_e32 v31, v84, v12
	v_mul_f32_e32 v12, v85, v12
	v_fma_f32 v35, v84, v13, -v12
	v_mul_f32_e32 v12, v87, v16
	v_fma_f32 v37, v86, v17, -v12
	;; [unrolled: 2-line block ×3, first 2 shown]
	v_mul_f32_e32 v40, v83, v25
	v_mul_f32_e32 v12, v83, v24
	v_fmac_f32_e32 v40, v82, v24
	v_fma_f32 v24, v82, v25, -v12
	v_mul_f32_e32 v25, v73, v29
	v_mul_f32_e32 v12, v73, v28
	v_fmac_f32_e32 v25, v72, v28
	v_fma_f32 v28, v72, v29, -v12
	v_mul_f32_e32 v29, v75, v33
	v_mul_f32_e32 v12, v75, v32
	;; [unrolled: 1-line block ×4, first 2 shown]
	v_fmac_f32_e32 v29, v74, v32
	v_fma_f32 v32, v74, v33, -v12
	v_add_f32_e32 v12, v34, v27
	v_add_f32_e32 v17, v11, v23
	v_fmac_f32_e32 v38, v80, v20
	v_add_f32_e32 v13, v10, v30
	v_add_f32_e32 v20, v14, v26
	;; [unrolled: 1-line block ×3, first 2 shown]
	v_sub_f32_e32 v15, v19, v15
	v_add_f32_e32 v19, v17, v12
	v_sub_f32_e32 v11, v11, v23
	v_add_f32_e32 v23, v18, v22
	;; [unrolled: 2-line block ×3, first 2 shown]
	v_add_f32_e32 v19, v21, v19
	v_sub_f32_e32 v14, v14, v26
	v_sub_f32_e32 v26, v17, v12
	;; [unrolled: 1-line block ×4, first 2 shown]
	v_add_f32_e32 v21, v23, v22
	v_add_f32_e32 v6, v6, v19
	v_fmac_f32_e32 v36, v86, v16
	v_sub_f32_e32 v16, v34, v27
	v_sub_f32_e32 v10, v10, v30
	;; [unrolled: 1-line block ×5, first 2 shown]
	v_add_f32_e32 v30, v15, v11
	v_add_f32_e32 v33, v18, v14
	v_sub_f32_e32 v34, v15, v11
	v_sub_f32_e32 v41, v18, v14
	v_add_f32_e32 v7, v7, v21
	v_mov_b32_e32 v42, v6
	v_sub_f32_e32 v15, v16, v15
	v_sub_f32_e32 v18, v10, v18
	;; [unrolled: 1-line block ×4, first 2 shown]
	v_add_f32_e32 v16, v30, v16
	v_add_f32_e32 v10, v33, v10
	v_mul_f32_e32 v12, 0x3f4a47b2, v12
	v_mul_f32_e32 v13, 0x3f4a47b2, v13
	;; [unrolled: 1-line block ×6, first 2 shown]
	v_fmac_f32_e32 v42, 0xbf955555, v19
	v_mov_b32_e32 v19, v7
	v_mul_f32_e32 v34, 0xbf5ff5aa, v11
	v_mul_f32_e32 v41, 0xbf5ff5aa, v14
	v_fmac_f32_e32 v19, 0xbf955555, v21
	v_fma_f32 v21, v26, s2, -v22
	v_fma_f32 v22, v27, s2, -v23
	;; [unrolled: 1-line block ×3, first 2 shown]
	v_fmac_f32_e32 v12, 0x3d64c772, v17
	v_fma_f32 v17, v27, s1, -v13
	v_fmac_f32_e32 v13, 0x3d64c772, v20
	v_fma_f32 v20, v11, s0, -v30
	v_fma_f32 v26, v14, s0, -v33
	v_fmac_f32_e32 v30, 0xbeae86e6, v15
	v_fmac_f32_e32 v33, 0xbeae86e6, v18
	v_fma_f32 v27, v15, s3, -v34
	v_fma_f32 v18, v18, s3, -v41
	v_add_f32_e32 v21, v21, v42
	v_add_f32_e32 v22, v22, v19
	v_fmac_f32_e32 v20, 0xbee1c552, v16
	v_fmac_f32_e32 v26, 0xbee1c552, v10
	v_add_f32_e32 v34, v12, v42
	v_add_f32_e32 v41, v13, v19
	v_add_f32_e32 v23, v23, v42
	v_add_f32_e32 v19, v17, v19
	v_fmac_f32_e32 v30, 0xbee1c552, v16
	v_fmac_f32_e32 v33, 0xbee1c552, v10
	;; [unrolled: 1-line block ×4, first 2 shown]
	v_sub_f32_e32 v14, v21, v26
	v_add_f32_e32 v15, v20, v22
	v_add_f32_e32 v16, v26, v21
	v_sub_f32_e32 v17, v22, v20
	v_add_f32_e32 v22, v31, v29
	v_sub_f32_e32 v26, v31, v29
	v_add_f32_e32 v29, v36, v25
	v_add_f32_e32 v10, v33, v34
	v_sub_f32_e32 v11, v41, v30
	v_add_f32_e32 v12, v18, v23
	v_sub_f32_e32 v18, v23, v18
	v_sub_f32_e32 v20, v34, v33
	v_add_f32_e32 v21, v30, v41
	v_add_f32_e32 v23, v35, v32
	;; [unrolled: 1-line block ×5, first 2 shown]
	v_sub_f32_e32 v13, v19, v27
	v_add_f32_e32 v19, v27, v19
	v_sub_f32_e32 v27, v35, v32
	v_sub_f32_e32 v25, v36, v25
	v_add_f32_e32 v32, v39, v24
	v_add_f32_e32 v35, v30, v23
	v_sub_f32_e32 v36, v29, v22
	v_sub_f32_e32 v22, v22, v31
	;; [unrolled: 1-line block ×3, first 2 shown]
	v_add_f32_e32 v31, v31, v34
	v_sub_f32_e32 v28, v37, v28
	v_sub_f32_e32 v33, v40, v38
	;; [unrolled: 1-line block ×6, first 2 shown]
	v_add_f32_e32 v32, v32, v35
	v_add_f32_e32 v8, v8, v31
	;; [unrolled: 1-line block ×4, first 2 shown]
	v_sub_f32_e32 v40, v33, v25
	v_sub_f32_e32 v41, v24, v28
	;; [unrolled: 1-line block ×4, first 2 shown]
	v_add_f32_e32 v9, v9, v32
	v_mov_b32_e32 v42, v8
	v_sub_f32_e32 v33, v26, v33
	v_sub_f32_e32 v24, v27, v24
	v_add_f32_e32 v26, v38, v26
	v_add_f32_e32 v27, v39, v27
	v_mul_f32_e32 v22, 0x3f4a47b2, v22
	v_mul_f32_e32 v23, 0x3f4a47b2, v23
	v_mul_f32_e32 v34, 0x3d64c772, v29
	v_mul_f32_e32 v35, 0x3d64c772, v30
	v_mul_f32_e32 v38, 0x3f08b237, v40
	v_mul_f32_e32 v39, 0x3f08b237, v41
	v_mul_f32_e32 v40, 0xbf5ff5aa, v25
	v_mul_f32_e32 v41, 0xbf5ff5aa, v28
	v_fmac_f32_e32 v42, 0xbf955555, v31
	v_mov_b32_e32 v31, v9
	v_fmac_f32_e32 v31, 0xbf955555, v32
	v_fma_f32 v32, v36, s2, -v34
	v_fma_f32 v34, v37, s2, -v35
	;; [unrolled: 1-line block ×3, first 2 shown]
	v_fmac_f32_e32 v22, 0x3d64c772, v29
	v_fma_f32 v29, v37, s1, -v23
	v_fmac_f32_e32 v23, 0x3d64c772, v30
	v_fma_f32 v30, v25, s0, -v38
	v_fmac_f32_e32 v38, 0xbeae86e6, v33
	v_fma_f32 v28, v28, s0, -v39
	v_fmac_f32_e32 v39, 0xbeae86e6, v24
	v_fma_f32 v33, v33, s3, -v40
	v_fma_f32 v36, v24, s3, -v41
	ds_write_b64 v164, v[6:7]
	v_add_u32_e32 v6, 0x400, v164
	v_add_f32_e32 v37, v22, v42
	v_add_f32_e32 v40, v23, v31
	;; [unrolled: 1-line block ×5, first 2 shown]
	v_fmac_f32_e32 v38, 0xbee1c552, v26
	v_fmac_f32_e32 v39, 0xbee1c552, v27
	;; [unrolled: 1-line block ×4, first 2 shown]
	ds_write2_b64 v6, v[10:11], v[12:13] offset0:26 offset1:180
	ds_write_b64 v164, v[14:15] offset:3696
	v_add_u32_e32 v6, 0x1200, v171
	v_add_f32_e32 v32, v32, v42
	v_fmac_f32_e32 v30, 0xbee1c552, v26
	v_fmac_f32_e32 v28, 0xbee1c552, v27
	v_add_f32_e32 v22, v39, v37
	v_sub_f32_e32 v23, v40, v38
	v_add_f32_e32 v24, v36, v35
	v_sub_f32_e32 v25, v31, v33
	ds_write2_b64 v6, v[16:17], v[18:19] offset0:40 offset1:194
	ds_write_b64 v171, v[20:21] offset:7392
	ds_write_b64 v164, v[8:9] offset:616
	v_add_u32_e32 v6, 0x400, v92
	v_sub_f32_e32 v26, v32, v28
	v_add_f32_e32 v27, v30, v34
	v_add_f32_e32 v28, v28, v32
	v_sub_f32_e32 v29, v34, v30
	ds_write2_b64 v6, v[22:23], v[24:25] offset0:26 offset1:180
	v_add_u32_e32 v6, 0xc00, v92
	v_sub_f32_e32 v30, v35, v36
	v_add_f32_e32 v31, v33, v31
	v_sub_f32_e32 v32, v37, v39
	v_add_f32_e32 v33, v38, v40
	ds_write2_b64 v6, v[26:27], v[28:29] offset0:78 offset1:232
	v_add_u32_e32 v6, 0x1800, v92
	ds_write2_b64 v6, v[30:31], v[32:33] offset0:2 offset1:156
	s_waitcnt lgkmcnt(0)
	s_barrier
	ds_read2_b64 v[6:9], v164 offset1:77
	v_mad_u64_u32 v[10:11], s[0:1], s7, v148, v[1:2]
	s_mov_b32 s0, 0xdbe74d6b
	s_mov_b32 s1, 0x3f4e65a3
	s_waitcnt lgkmcnt(0)
	v_mul_f32_e32 v1, v156, v7
	v_fmac_f32_e32 v1, v155, v6
	v_cvt_f64_f32_e32 v[11:12], v1
	v_mul_f32_e32 v1, v156, v6
	v_mad_u64_u32 v[14:15], s[2:3], s4, v163, 0
	v_mul_f64 v[11:12], v[11:12], s[0:1]
	v_fma_f32 v1, v155, v7, -v1
	v_cvt_f64_f32_e32 v[6:7], v1
	v_mov_b32_e32 v1, v10
	v_mov_b32_e32 v10, v15
	v_lshlrev_b64 v[0:1], 3, v[0:1]
	v_mul_f64 v[6:7], v[6:7], s[0:1]
	v_add_co_u32_e32 v18, vcc, s12, v0
	v_mad_u64_u32 v[15:16], s[2:3], s5, v163, v[10:11]
	v_cvt_f32_f64_e32 v16, v[11:12]
	ds_read2_b64 v[10:13], v5 offset0:78 offset1:155
	s_mul_i32 s2, s5, 0x10d8
	v_cvt_f32_f64_e32 v17, v[6:7]
	v_mov_b32_e32 v7, s13
	v_addc_co_u32_e32 v7, vcc, v7, v1, vcc
	s_waitcnt lgkmcnt(0)
	v_mul_f32_e32 v5, v158, v13
	v_fmac_f32_e32 v5, v157, v12
	v_mul_f32_e32 v12, v158, v12
	v_fma_f32 v12, v157, v13, -v12
	v_cvt_f64_f32_e32 v[5:6], v5
	v_cvt_f64_f32_e32 v[12:13], v12
	s_mul_hi_u32 s3, s4, 0x10d8
	s_add_i32 s2, s3, s2
	v_mul_f64 v[0:1], v[5:6], s[0:1]
	v_mul_f64 v[5:6], v[12:13], s[0:1]
	v_lshlrev_b64 v[12:13], 3, v[14:15]
	s_mul_i32 s3, s4, 0x10d8
	v_add_co_u32_e32 v12, vcc, v18, v12
	v_addc_co_u32_e32 v13, vcc, v7, v13, vcc
	v_cvt_f32_f64_e32 v0, v[0:1]
	v_cvt_f32_f64_e32 v1, v[5:6]
	v_mul_f32_e32 v5, v160, v9
	v_mul_f32_e32 v7, v160, v8
	v_fmac_f32_e32 v5, v159, v8
	v_fma_f32 v7, v159, v9, -v7
	v_cvt_f64_f32_e32 v[5:6], v5
	v_cvt_f64_f32_e32 v[7:8], v7
	global_store_dwordx2 v[12:13], v[16:17], off
	v_mov_b32_e32 v9, s2
	v_mul_f64 v[5:6], v[5:6], s[0:1]
	v_mul_f64 v[7:8], v[7:8], s[0:1]
	v_add_co_u32_e32 v16, vcc, s3, v12
	v_addc_co_u32_e32 v17, vcc, v13, v9, vcc
	global_store_dwordx2 v[16:17], v[0:1], off
	s_mul_hi_u32 s6, s4, 0xfffff190
	v_cvt_f32_f64_e32 v0, v[5:6]
	v_cvt_f32_f64_e32 v1, v[7:8]
	ds_read2_b64 v[4:7], v4 offset0:104 offset1:181
	ds_read2_b64 v[12:15], v164 offset0:154 offset1:231
	s_mulk_i32 s5, 0xf190
	s_sub_i32 s6, s6, s4
	s_add_i32 s5, s6, s5
	s_waitcnt lgkmcnt(1)
	v_mul_f32_e32 v8, v150, v5
	v_fmac_f32_e32 v8, v149, v4
	v_mul_f32_e32 v4, v150, v4
	v_fma_f32 v4, v149, v5, -v4
	v_cvt_f64_f32_e32 v[8:9], v8
	v_cvt_f64_f32_e32 v[4:5], v4
	s_mulk_i32 s4, 0xf190
	v_mov_b32_e32 v18, s5
	v_mul_f64 v[8:9], v[8:9], s[0:1]
	v_mul_f64 v[4:5], v[4:5], s[0:1]
	v_add_co_u32_e32 v16, vcc, s4, v16
	v_addc_co_u32_e32 v17, vcc, v17, v18, vcc
	global_store_dwordx2 v[16:17], v[0:1], off
	s_waitcnt lgkmcnt(0)
	v_mul_f32_e32 v0, v154, v13
	v_fmac_f32_e32 v0, v153, v12
	v_cvt_f64_f32_e32 v[0:1], v0
	v_cvt_f32_f64_e32 v8, v[8:9]
	v_cvt_f32_f64_e32 v9, v[4:5]
	v_mul_f32_e32 v4, v154, v12
	v_fma_f32 v4, v153, v13, -v4
	v_mul_f64 v[0:1], v[0:1], s[0:1]
	v_cvt_f64_f32_e32 v[4:5], v4
	v_mov_b32_e32 v18, s2
	v_add_co_u32_e32 v12, vcc, s3, v16
	v_mul_f64 v[4:5], v[4:5], s[0:1]
	v_addc_co_u32_e32 v13, vcc, v17, v18, vcc
	v_cvt_f32_f64_e32 v0, v[0:1]
	v_mul_f32_e32 v1, v152, v7
	v_fmac_f32_e32 v1, v151, v6
	global_store_dwordx2 v[12:13], v[8:9], off
	v_cvt_f64_f32_e32 v[8:9], v1
	v_mul_f32_e32 v1, v152, v6
	v_fma_f32 v1, v151, v7, -v1
	v_cvt_f64_f32_e32 v[6:7], v1
	v_cvt_f32_f64_e32 v1, v[4:5]
	v_mov_b32_e32 v16, s5
	v_mul_f64 v[4:5], v[8:9], s[0:1]
	v_add_co_u32_e32 v8, vcc, s4, v12
	v_addc_co_u32_e32 v9, vcc, v13, v16, vcc
	global_store_dwordx2 v[8:9], v[0:1], off
	v_mul_f32_e32 v0, v147, v15
	v_mul_f64 v[6:7], v[6:7], s[0:1]
	v_fmac_f32_e32 v0, v146, v14
	v_cvt_f64_f32_e32 v[0:1], v0
	v_cvt_f32_f64_e32 v12, v[4:5]
	v_mul_f32_e32 v4, v147, v14
	v_fma_f32 v4, v146, v15, -v4
	v_mul_f64 v[0:1], v[0:1], s[0:1]
	v_cvt_f64_f32_e32 v[14:15], v4
	v_cvt_f32_f64_e32 v13, v[6:7]
	ds_read2_b64 v[4:7], v2 offset0:2 offset1:79
	v_mov_b32_e32 v16, s2
	v_add_co_u32_e32 v8, vcc, s3, v8
	v_addc_co_u32_e32 v9, vcc, v9, v16, vcc
	global_store_dwordx2 v[8:9], v[12:13], off
	v_mul_f64 v[12:13], v[14:15], s[0:1]
	v_cvt_f32_f64_e32 v0, v[0:1]
	s_waitcnt lgkmcnt(0)
	v_mul_f32_e32 v1, v145, v5
	v_fmac_f32_e32 v1, v144, v4
	v_cvt_f64_f32_e32 v[14:15], v1
	v_mul_f32_e32 v1, v145, v4
	v_fma_f32 v1, v144, v5, -v1
	v_cvt_f64_f32_e32 v[4:5], v1
	v_cvt_f32_f64_e32 v1, v[12:13]
	v_mov_b32_e32 v12, s5
	v_add_co_u32_e32 v8, vcc, s4, v8
	v_mul_f64 v[16:17], v[14:15], s[0:1]
	v_mul_f64 v[4:5], v[4:5], s[0:1]
	v_addc_co_u32_e32 v9, vcc, v9, v12, vcc
	ds_read2_b64 v[12:15], v3 offset0:52 offset1:129
	global_store_dwordx2 v[8:9], v[0:1], off
	v_add_co_u32_e32 v8, vcc, s3, v8
	v_cvt_f32_f64_e32 v0, v[16:17]
	s_waitcnt lgkmcnt(0)
	v_mul_f32_e32 v3, v143, v13
	v_fmac_f32_e32 v3, v142, v12
	v_mul_f32_e32 v12, v143, v12
	v_fma_f32 v12, v142, v13, -v12
	v_cvt_f32_f64_e32 v1, v[4:5]
	v_cvt_f64_f32_e32 v[3:4], v3
	v_cvt_f64_f32_e32 v[12:13], v12
	v_mov_b32_e32 v5, s2
	v_addc_co_u32_e32 v9, vcc, v9, v5, vcc
	global_store_dwordx2 v[8:9], v[0:1], off
	v_mul_f64 v[0:1], v[3:4], s[0:1]
	v_mul_f64 v[3:4], v[12:13], s[0:1]
	v_mul_f32_e32 v5, v141, v7
	v_fmac_f32_e32 v5, v140, v6
	v_cvt_f64_f32_e32 v[12:13], v5
	v_mul_f32_e32 v5, v141, v6
	v_fma_f32 v5, v140, v7, -v5
	v_cvt_f64_f32_e32 v[5:6], v5
	v_cvt_f32_f64_e32 v0, v[0:1]
	v_cvt_f32_f64_e32 v1, v[3:4]
	v_mul_f64 v[3:4], v[12:13], s[0:1]
	v_mul_f64 v[5:6], v[5:6], s[0:1]
	v_mov_b32_e32 v12, s5
	v_add_co_u32_e32 v7, vcc, s4, v8
	v_addc_co_u32_e32 v8, vcc, v9, v12, vcc
	global_store_dwordx2 v[7:8], v[0:1], off
	v_mul_f32_e32 v0, v139, v15
	v_fmac_f32_e32 v0, v138, v14
	v_cvt_f64_f32_e32 v[12:13], v0
	v_mul_f32_e32 v0, v139, v14
	v_fma_f32 v0, v138, v15, -v0
	v_cvt_f32_f64_e32 v4, v[3:4]
	v_cvt_f32_f64_e32 v5, v[5:6]
	v_cvt_f64_f32_e32 v[14:15], v0
	ds_read2_b64 v[0:3], v2 offset0:156 offset1:233
	v_mov_b32_e32 v9, s2
	v_add_co_u32_e32 v6, vcc, s3, v7
	v_addc_co_u32_e32 v7, vcc, v8, v9, vcc
	global_store_dwordx2 v[6:7], v[4:5], off
	v_mul_f64 v[4:5], v[12:13], s[0:1]
	v_mul_f64 v[8:9], v[14:15], s[0:1]
	s_waitcnt lgkmcnt(0)
	v_mul_f32_e32 v12, v137, v1
	v_fmac_f32_e32 v12, v136, v0
	v_mul_f32_e32 v0, v137, v0
	v_fma_f32 v0, v136, v1, -v0
	v_cvt_f64_f32_e32 v[12:13], v12
	v_cvt_f64_f32_e32 v[0:1], v0
	v_cvt_f32_f64_e32 v4, v[4:5]
	v_cvt_f32_f64_e32 v5, v[8:9]
	v_mul_f64 v[8:9], v[12:13], s[0:1]
	v_mul_f64 v[0:1], v[0:1], s[0:1]
	v_mov_b32_e32 v12, s5
	v_add_co_u32_e32 v6, vcc, s4, v6
	v_addc_co_u32_e32 v7, vcc, v7, v12, vcc
	global_store_dwordx2 v[6:7], v[4:5], off
	v_cvt_f32_f64_e32 v4, v[8:9]
	v_cvt_f32_f64_e32 v5, v[0:1]
	v_mul_f32_e32 v0, v135, v11
	v_mul_f32_e32 v8, v135, v10
	v_fmac_f32_e32 v0, v134, v10
	v_fma_f32 v8, v134, v11, -v8
	v_cvt_f64_f32_e32 v[0:1], v0
	v_cvt_f64_f32_e32 v[8:9], v8
	v_mov_b32_e32 v12, s2
	v_add_co_u32_e32 v6, vcc, s3, v6
	v_addc_co_u32_e32 v7, vcc, v7, v12, vcc
	global_store_dwordx2 v[6:7], v[4:5], off
	v_mul_f64 v[0:1], v[0:1], s[0:1]
	v_mul_f64 v[4:5], v[8:9], s[0:1]
	v_mul_f32_e32 v8, v133, v3
	v_fmac_f32_e32 v8, v132, v2
	v_mul_f32_e32 v2, v133, v2
	v_fma_f32 v2, v132, v3, -v2
	v_cvt_f64_f32_e32 v[8:9], v8
	v_cvt_f64_f32_e32 v[2:3], v2
	v_cvt_f32_f64_e32 v0, v[0:1]
	v_cvt_f32_f64_e32 v1, v[4:5]
	v_mul_f64 v[4:5], v[8:9], s[0:1]
	v_mul_f64 v[2:3], v[2:3], s[0:1]
	v_mov_b32_e32 v8, s5
	v_add_co_u32_e32 v6, vcc, s4, v6
	v_addc_co_u32_e32 v7, vcc, v7, v8, vcc
	global_store_dwordx2 v[6:7], v[0:1], off
	v_cvt_f32_f64_e32 v0, v[4:5]
	v_cvt_f32_f64_e32 v1, v[2:3]
	v_mov_b32_e32 v3, s2
	v_add_co_u32_e32 v2, vcc, s3, v6
	v_addc_co_u32_e32 v3, vcc, v7, v3, vcc
	global_store_dwordx2 v[2:3], v[0:1], off
.LBB0_10:
	s_endpgm
	.section	.rodata,"a",@progbits
	.p2align	6, 0x0
	.amdhsa_kernel bluestein_single_back_len1078_dim1_sp_op_CI_CI
		.amdhsa_group_segment_fixed_size 25872
		.amdhsa_private_segment_fixed_size 0
		.amdhsa_kernarg_size 104
		.amdhsa_user_sgpr_count 6
		.amdhsa_user_sgpr_private_segment_buffer 1
		.amdhsa_user_sgpr_dispatch_ptr 0
		.amdhsa_user_sgpr_queue_ptr 0
		.amdhsa_user_sgpr_kernarg_segment_ptr 1
		.amdhsa_user_sgpr_dispatch_id 0
		.amdhsa_user_sgpr_flat_scratch_init 0
		.amdhsa_user_sgpr_private_segment_size 0
		.amdhsa_uses_dynamic_stack 0
		.amdhsa_system_sgpr_private_segment_wavefront_offset 0
		.amdhsa_system_sgpr_workgroup_id_x 1
		.amdhsa_system_sgpr_workgroup_id_y 0
		.amdhsa_system_sgpr_workgroup_id_z 0
		.amdhsa_system_sgpr_workgroup_info 0
		.amdhsa_system_vgpr_workitem_id 0
		.amdhsa_next_free_vgpr 195
		.amdhsa_next_free_sgpr 20
		.amdhsa_reserve_vcc 1
		.amdhsa_reserve_flat_scratch 0
		.amdhsa_float_round_mode_32 0
		.amdhsa_float_round_mode_16_64 0
		.amdhsa_float_denorm_mode_32 3
		.amdhsa_float_denorm_mode_16_64 3
		.amdhsa_dx10_clamp 1
		.amdhsa_ieee_mode 1
		.amdhsa_fp16_overflow 0
		.amdhsa_exception_fp_ieee_invalid_op 0
		.amdhsa_exception_fp_denorm_src 0
		.amdhsa_exception_fp_ieee_div_zero 0
		.amdhsa_exception_fp_ieee_overflow 0
		.amdhsa_exception_fp_ieee_underflow 0
		.amdhsa_exception_fp_ieee_inexact 0
		.amdhsa_exception_int_div_zero 0
	.end_amdhsa_kernel
	.text
.Lfunc_end0:
	.size	bluestein_single_back_len1078_dim1_sp_op_CI_CI, .Lfunc_end0-bluestein_single_back_len1078_dim1_sp_op_CI_CI
                                        ; -- End function
	.section	.AMDGPU.csdata,"",@progbits
; Kernel info:
; codeLenInByte = 18600
; NumSgprs: 24
; NumVgprs: 195
; ScratchSize: 0
; MemoryBound: 0
; FloatMode: 240
; IeeeMode: 1
; LDSByteSize: 25872 bytes/workgroup (compile time only)
; SGPRBlocks: 2
; VGPRBlocks: 48
; NumSGPRsForWavesPerEU: 24
; NumVGPRsForWavesPerEU: 195
; Occupancy: 1
; WaveLimiterHint : 1
; COMPUTE_PGM_RSRC2:SCRATCH_EN: 0
; COMPUTE_PGM_RSRC2:USER_SGPR: 6
; COMPUTE_PGM_RSRC2:TRAP_HANDLER: 0
; COMPUTE_PGM_RSRC2:TGID_X_EN: 1
; COMPUTE_PGM_RSRC2:TGID_Y_EN: 0
; COMPUTE_PGM_RSRC2:TGID_Z_EN: 0
; COMPUTE_PGM_RSRC2:TIDIG_COMP_CNT: 0
	.type	__hip_cuid_8a341216ee356089,@object ; @__hip_cuid_8a341216ee356089
	.section	.bss,"aw",@nobits
	.globl	__hip_cuid_8a341216ee356089
__hip_cuid_8a341216ee356089:
	.byte	0                               ; 0x0
	.size	__hip_cuid_8a341216ee356089, 1

	.ident	"AMD clang version 19.0.0git (https://github.com/RadeonOpenCompute/llvm-project roc-6.4.0 25133 c7fe45cf4b819c5991fe208aaa96edf142730f1d)"
	.section	".note.GNU-stack","",@progbits
	.addrsig
	.addrsig_sym __hip_cuid_8a341216ee356089
	.amdgpu_metadata
---
amdhsa.kernels:
  - .args:
      - .actual_access:  read_only
        .address_space:  global
        .offset:         0
        .size:           8
        .value_kind:     global_buffer
      - .actual_access:  read_only
        .address_space:  global
        .offset:         8
        .size:           8
        .value_kind:     global_buffer
      - .actual_access:  read_only
        .address_space:  global
        .offset:         16
        .size:           8
        .value_kind:     global_buffer
      - .actual_access:  read_only
        .address_space:  global
        .offset:         24
        .size:           8
        .value_kind:     global_buffer
      - .actual_access:  read_only
        .address_space:  global
        .offset:         32
        .size:           8
        .value_kind:     global_buffer
      - .offset:         40
        .size:           8
        .value_kind:     by_value
      - .address_space:  global
        .offset:         48
        .size:           8
        .value_kind:     global_buffer
      - .address_space:  global
        .offset:         56
        .size:           8
        .value_kind:     global_buffer
      - .address_space:  global
        .offset:         64
        .size:           8
        .value_kind:     global_buffer
      - .address_space:  global
        .offset:         72
        .size:           8
        .value_kind:     global_buffer
      - .offset:         80
        .size:           4
        .value_kind:     by_value
      - .address_space:  global
        .offset:         88
        .size:           8
        .value_kind:     global_buffer
      - .address_space:  global
        .offset:         96
        .size:           8
        .value_kind:     global_buffer
    .group_segment_fixed_size: 25872
    .kernarg_segment_align: 8
    .kernarg_segment_size: 104
    .language:       OpenCL C
    .language_version:
      - 2
      - 0
    .max_flat_workgroup_size: 231
    .name:           bluestein_single_back_len1078_dim1_sp_op_CI_CI
    .private_segment_fixed_size: 0
    .sgpr_count:     24
    .sgpr_spill_count: 0
    .symbol:         bluestein_single_back_len1078_dim1_sp_op_CI_CI.kd
    .uniform_work_group_size: 1
    .uses_dynamic_stack: false
    .vgpr_count:     195
    .vgpr_spill_count: 0
    .wavefront_size: 64
amdhsa.target:   amdgcn-amd-amdhsa--gfx906
amdhsa.version:
  - 1
  - 2
...

	.end_amdgpu_metadata
